;; amdgpu-corpus repo=ROCm/rocFFT kind=compiled arch=gfx906 opt=O3
	.text
	.amdgcn_target "amdgcn-amd-amdhsa--gfx906"
	.amdhsa_code_object_version 6
	.protected	fft_rtc_fwd_len1496_factors_17_8_11_wgs_187_tpt_187_halfLds_dp_ip_CI_unitstride_sbrr_dirReg ; -- Begin function fft_rtc_fwd_len1496_factors_17_8_11_wgs_187_tpt_187_halfLds_dp_ip_CI_unitstride_sbrr_dirReg
	.globl	fft_rtc_fwd_len1496_factors_17_8_11_wgs_187_tpt_187_halfLds_dp_ip_CI_unitstride_sbrr_dirReg
	.p2align	8
	.type	fft_rtc_fwd_len1496_factors_17_8_11_wgs_187_tpt_187_halfLds_dp_ip_CI_unitstride_sbrr_dirReg,@function
fft_rtc_fwd_len1496_factors_17_8_11_wgs_187_tpt_187_halfLds_dp_ip_CI_unitstride_sbrr_dirReg: ; @fft_rtc_fwd_len1496_factors_17_8_11_wgs_187_tpt_187_halfLds_dp_ip_CI_unitstride_sbrr_dirReg
; %bb.0:
	s_load_dwordx2 s[12:13], s[4:5], 0x50
	s_load_dwordx4 s[8:11], s[4:5], 0x0
	s_load_dwordx2 s[2:3], s[4:5], 0x18
	v_mul_u32_u24_e32 v1, 0x15f, v0
	v_add_u32_sdwa v5, s6, v1 dst_sel:DWORD dst_unused:UNUSED_PAD src0_sel:DWORD src1_sel:WORD_1
	v_mov_b32_e32 v3, 0
	s_waitcnt lgkmcnt(0)
	v_cmp_lt_u64_e64 s[0:1], s[10:11], 2
	v_mov_b32_e32 v1, 0
	v_mov_b32_e32 v6, v3
	s_and_b64 vcc, exec, s[0:1]
	v_mov_b32_e32 v2, 0
	s_cbranch_vccnz .LBB0_8
; %bb.1:
	s_load_dwordx2 s[0:1], s[4:5], 0x10
	s_add_u32 s6, s2, 8
	s_addc_u32 s7, s3, 0
	v_mov_b32_e32 v1, 0
	v_mov_b32_e32 v2, 0
	s_waitcnt lgkmcnt(0)
	s_add_u32 s14, s0, 8
	s_addc_u32 s15, s1, 0
	s_mov_b64 s[16:17], 1
.LBB0_2:                                ; =>This Inner Loop Header: Depth=1
	s_load_dwordx2 s[18:19], s[14:15], 0x0
                                        ; implicit-def: $vgpr7_vgpr8
	s_waitcnt lgkmcnt(0)
	v_or_b32_e32 v4, s19, v6
	v_cmp_ne_u64_e32 vcc, 0, v[3:4]
	s_and_saveexec_b64 s[0:1], vcc
	s_xor_b64 s[20:21], exec, s[0:1]
	s_cbranch_execz .LBB0_4
; %bb.3:                                ;   in Loop: Header=BB0_2 Depth=1
	v_cvt_f32_u32_e32 v4, s18
	v_cvt_f32_u32_e32 v7, s19
	s_sub_u32 s0, 0, s18
	s_subb_u32 s1, 0, s19
	v_mac_f32_e32 v4, 0x4f800000, v7
	v_rcp_f32_e32 v4, v4
	v_mul_f32_e32 v4, 0x5f7ffffc, v4
	v_mul_f32_e32 v7, 0x2f800000, v4
	v_trunc_f32_e32 v7, v7
	v_mac_f32_e32 v4, 0xcf800000, v7
	v_cvt_u32_f32_e32 v7, v7
	v_cvt_u32_f32_e32 v4, v4
	v_mul_lo_u32 v8, s0, v7
	v_mul_hi_u32 v9, s0, v4
	v_mul_lo_u32 v11, s1, v4
	v_mul_lo_u32 v10, s0, v4
	v_add_u32_e32 v8, v9, v8
	v_add_u32_e32 v8, v8, v11
	v_mul_hi_u32 v9, v4, v10
	v_mul_lo_u32 v11, v4, v8
	v_mul_hi_u32 v13, v4, v8
	v_mul_hi_u32 v12, v7, v10
	v_mul_lo_u32 v10, v7, v10
	v_mul_hi_u32 v14, v7, v8
	v_add_co_u32_e32 v9, vcc, v9, v11
	v_addc_co_u32_e32 v11, vcc, 0, v13, vcc
	v_mul_lo_u32 v8, v7, v8
	v_add_co_u32_e32 v9, vcc, v9, v10
	v_addc_co_u32_e32 v9, vcc, v11, v12, vcc
	v_addc_co_u32_e32 v10, vcc, 0, v14, vcc
	v_add_co_u32_e32 v8, vcc, v9, v8
	v_addc_co_u32_e32 v9, vcc, 0, v10, vcc
	v_add_co_u32_e32 v4, vcc, v4, v8
	v_addc_co_u32_e32 v7, vcc, v7, v9, vcc
	v_mul_lo_u32 v8, s0, v7
	v_mul_hi_u32 v9, s0, v4
	v_mul_lo_u32 v10, s1, v4
	v_mul_lo_u32 v11, s0, v4
	v_add_u32_e32 v8, v9, v8
	v_add_u32_e32 v8, v8, v10
	v_mul_lo_u32 v12, v4, v8
	v_mul_hi_u32 v13, v4, v11
	v_mul_hi_u32 v14, v4, v8
	;; [unrolled: 1-line block ×3, first 2 shown]
	v_mul_lo_u32 v11, v7, v11
	v_mul_hi_u32 v9, v7, v8
	v_add_co_u32_e32 v12, vcc, v13, v12
	v_addc_co_u32_e32 v13, vcc, 0, v14, vcc
	v_mul_lo_u32 v8, v7, v8
	v_add_co_u32_e32 v11, vcc, v12, v11
	v_addc_co_u32_e32 v10, vcc, v13, v10, vcc
	v_addc_co_u32_e32 v9, vcc, 0, v9, vcc
	v_add_co_u32_e32 v8, vcc, v10, v8
	v_addc_co_u32_e32 v9, vcc, 0, v9, vcc
	v_add_co_u32_e32 v4, vcc, v4, v8
	v_addc_co_u32_e32 v9, vcc, v7, v9, vcc
	v_mad_u64_u32 v[7:8], s[0:1], v5, v9, 0
	v_mul_hi_u32 v10, v5, v4
	v_add_co_u32_e32 v11, vcc, v10, v7
	v_addc_co_u32_e32 v12, vcc, 0, v8, vcc
	v_mad_u64_u32 v[7:8], s[0:1], v6, v4, 0
	v_mad_u64_u32 v[9:10], s[0:1], v6, v9, 0
	v_add_co_u32_e32 v4, vcc, v11, v7
	v_addc_co_u32_e32 v4, vcc, v12, v8, vcc
	v_addc_co_u32_e32 v7, vcc, 0, v10, vcc
	v_add_co_u32_e32 v4, vcc, v4, v9
	v_addc_co_u32_e32 v9, vcc, 0, v7, vcc
	v_mul_lo_u32 v10, s19, v4
	v_mul_lo_u32 v11, s18, v9
	v_mad_u64_u32 v[7:8], s[0:1], s18, v4, 0
	v_add3_u32 v8, v8, v11, v10
	v_sub_u32_e32 v10, v6, v8
	v_mov_b32_e32 v11, s19
	v_sub_co_u32_e32 v7, vcc, v5, v7
	v_subb_co_u32_e64 v10, s[0:1], v10, v11, vcc
	v_subrev_co_u32_e64 v11, s[0:1], s18, v7
	v_subbrev_co_u32_e64 v10, s[0:1], 0, v10, s[0:1]
	v_cmp_le_u32_e64 s[0:1], s19, v10
	v_cndmask_b32_e64 v12, 0, -1, s[0:1]
	v_cmp_le_u32_e64 s[0:1], s18, v11
	v_cndmask_b32_e64 v11, 0, -1, s[0:1]
	v_cmp_eq_u32_e64 s[0:1], s19, v10
	v_cndmask_b32_e64 v10, v12, v11, s[0:1]
	v_add_co_u32_e64 v11, s[0:1], 2, v4
	v_addc_co_u32_e64 v12, s[0:1], 0, v9, s[0:1]
	v_add_co_u32_e64 v13, s[0:1], 1, v4
	v_addc_co_u32_e64 v14, s[0:1], 0, v9, s[0:1]
	v_subb_co_u32_e32 v8, vcc, v6, v8, vcc
	v_cmp_ne_u32_e64 s[0:1], 0, v10
	v_cmp_le_u32_e32 vcc, s19, v8
	v_cndmask_b32_e64 v10, v14, v12, s[0:1]
	v_cndmask_b32_e64 v12, 0, -1, vcc
	v_cmp_le_u32_e32 vcc, s18, v7
	v_cndmask_b32_e64 v7, 0, -1, vcc
	v_cmp_eq_u32_e32 vcc, s19, v8
	v_cndmask_b32_e32 v7, v12, v7, vcc
	v_cmp_ne_u32_e32 vcc, 0, v7
	v_cndmask_b32_e64 v7, v13, v11, s[0:1]
	v_cndmask_b32_e32 v8, v9, v10, vcc
	v_cndmask_b32_e32 v7, v4, v7, vcc
.LBB0_4:                                ;   in Loop: Header=BB0_2 Depth=1
	s_andn2_saveexec_b64 s[0:1], s[20:21]
	s_cbranch_execz .LBB0_6
; %bb.5:                                ;   in Loop: Header=BB0_2 Depth=1
	v_cvt_f32_u32_e32 v4, s18
	s_sub_i32 s20, 0, s18
	v_rcp_iflag_f32_e32 v4, v4
	v_mul_f32_e32 v4, 0x4f7ffffe, v4
	v_cvt_u32_f32_e32 v4, v4
	v_mul_lo_u32 v7, s20, v4
	v_mul_hi_u32 v7, v4, v7
	v_add_u32_e32 v4, v4, v7
	v_mul_hi_u32 v4, v5, v4
	v_mul_lo_u32 v7, v4, s18
	v_add_u32_e32 v8, 1, v4
	v_sub_u32_e32 v7, v5, v7
	v_subrev_u32_e32 v9, s18, v7
	v_cmp_le_u32_e32 vcc, s18, v7
	v_cndmask_b32_e32 v7, v7, v9, vcc
	v_cndmask_b32_e32 v4, v4, v8, vcc
	v_add_u32_e32 v8, 1, v4
	v_cmp_le_u32_e32 vcc, s18, v7
	v_cndmask_b32_e32 v7, v4, v8, vcc
	v_mov_b32_e32 v8, v3
.LBB0_6:                                ;   in Loop: Header=BB0_2 Depth=1
	s_or_b64 exec, exec, s[0:1]
	v_mul_lo_u32 v4, v8, s18
	v_mul_lo_u32 v11, v7, s19
	v_mad_u64_u32 v[9:10], s[0:1], v7, s18, 0
	s_load_dwordx2 s[0:1], s[6:7], 0x0
	s_add_u32 s16, s16, 1
	v_add3_u32 v4, v10, v11, v4
	v_sub_co_u32_e32 v5, vcc, v5, v9
	v_subb_co_u32_e32 v4, vcc, v6, v4, vcc
	s_waitcnt lgkmcnt(0)
	v_mul_lo_u32 v4, s0, v4
	v_mul_lo_u32 v6, s1, v5
	v_mad_u64_u32 v[1:2], s[0:1], s0, v5, v[1:2]
	s_addc_u32 s17, s17, 0
	s_add_u32 s6, s6, 8
	v_add3_u32 v2, v6, v2, v4
	v_mov_b32_e32 v4, s10
	v_mov_b32_e32 v5, s11
	s_addc_u32 s7, s7, 0
	v_cmp_ge_u64_e32 vcc, s[16:17], v[4:5]
	s_add_u32 s14, s14, 8
	s_addc_u32 s15, s15, 0
	s_cbranch_vccnz .LBB0_9
; %bb.7:                                ;   in Loop: Header=BB0_2 Depth=1
	v_mov_b32_e32 v5, v7
	v_mov_b32_e32 v6, v8
	s_branch .LBB0_2
.LBB0_8:
	v_mov_b32_e32 v8, v6
	v_mov_b32_e32 v7, v5
.LBB0_9:
	s_lshl_b64 s[0:1], s[10:11], 3
	s_add_u32 s0, s2, s0
	s_addc_u32 s1, s3, s1
	s_load_dwordx2 s[2:3], s[0:1], 0x0
	s_load_dwordx2 s[6:7], s[4:5], 0x20
                                        ; implicit-def: $vgpr26_vgpr27
                                        ; implicit-def: $vgpr30_vgpr31
                                        ; implicit-def: $vgpr72_vgpr73
                                        ; implicit-def: $vgpr62_vgpr63
                                        ; implicit-def: $vgpr10_vgpr11
                                        ; implicit-def: $vgpr14_vgpr15
                                        ; implicit-def: $vgpr18_vgpr19
                                        ; implicit-def: $vgpr22_vgpr23
                                        ; implicit-def: $vgpr34_vgpr35
                                        ; implicit-def: $vgpr38_vgpr39
                                        ; implicit-def: $vgpr42_vgpr43
                                        ; implicit-def: $vgpr46_vgpr47
                                        ; implicit-def: $vgpr50_vgpr51
                                        ; implicit-def: $vgpr58_vgpr59
                                        ; implicit-def: $vgpr68_vgpr69
                                        ; implicit-def: $vgpr54_vgpr55
	s_waitcnt lgkmcnt(0)
	v_mad_u64_u32 v[1:2], s[0:1], s2, v7, v[1:2]
	s_mov_b32 s0, 0x15e75bc
	v_mul_lo_u32 v3, s2, v8
	v_mul_lo_u32 v4, s3, v7
	v_mul_hi_u32 v5, v0, s0
	v_cmp_gt_u64_e32 vcc, s[6:7], v[7:8]
	s_movk_i32 s0, 0x58
	v_add3_u32 v2, v4, v2, v3
	v_mul_u32_u24_e32 v3, 0xbb, v5
	v_sub_u32_e32 v90, v0, v3
	v_cmp_gt_u32_e64 s[0:1], s0, v90
	v_lshlrev_b64 v[92:93], 4, v[1:2]
	s_and_b64 s[2:3], vcc, s[0:1]
                                        ; implicit-def: $vgpr6_vgpr7
	s_and_saveexec_b64 s[4:5], s[2:3]
	s_cbranch_execz .LBB0_11
; %bb.10:
	v_mov_b32_e32 v91, 0
	v_mov_b32_e32 v0, s13
	v_add_co_u32_e64 v10, s[2:3], s12, v92
	v_addc_co_u32_e64 v11, s[2:3], v0, v93, s[2:3]
	v_lshlrev_b64 v[0:1], 4, v[90:91]
	v_or_b32_e32 v8, 0x580, v90
	v_add_co_u32_e64 v0, s[2:3], v10, v0
	v_addc_co_u32_e64 v1, s[2:3], v11, v1, s[2:3]
	s_movk_i32 s2, 0x1000
	v_add_co_u32_e64 v2, s[2:3], s2, v0
	v_addc_co_u32_e64 v3, s[2:3], 0, v1, s[2:3]
	s_movk_i32 s2, 0x2000
	;; [unrolled: 3-line block ×5, first 2 shown]
	v_mov_b32_e32 v9, v91
	global_load_dwordx4 v[4:7], v[0:1], off
	global_load_dwordx4 v[24:27], v[0:1], off offset:1408
	global_load_dwordx4 v[52:55], v[0:1], off offset:2816
	;; [unrolled: 1-line block ×3, first 2 shown]
	v_add_co_u32_e64 v0, s[2:3], s2, v0
	v_lshlrev_b64 v[8:9], 4, v[8:9]
	v_addc_co_u32_e64 v1, s[2:3], 0, v1, s[2:3]
	v_add_co_u32_e64 v78, s[2:3], v10, v8
	v_addc_co_u32_e64 v79, s[2:3], v11, v9, s[2:3]
	global_load_dwordx4 v[70:73], v[2:3], off offset:1536
	global_load_dwordx4 v[66:69], v[2:3], off offset:2944
	;; [unrolled: 1-line block ×12, first 2 shown]
	global_load_dwordx4 v[8:11], v[78:79], off
.LBB0_11:
	s_or_b64 exec, exec, s[4:5]
	s_waitcnt vmcnt(0)
	v_add_f64 v[64:65], v[24:25], v[8:9]
	s_mov_b32 s2, 0x7faef3
	s_mov_b32 s3, 0xbfef7484
	v_add_f64 v[74:75], v[26:27], -v[10:11]
	v_add_f64 v[76:77], v[12:13], v[52:53]
	s_mov_b32 s50, 0xacd6c6b4
	s_mov_b32 s4, 0x370991
	;; [unrolled: 1-line block ×3, first 2 shown]
	v_mul_f64 v[0:1], v[64:65], s[2:3]
	s_mov_b32 s5, 0x3fedd6d0
	v_add_f64 v[78:79], v[54:55], -v[14:15]
	s_mov_b32 s16, 0x5d8e7cdc
	v_mul_f64 v[2:3], v[76:77], s[4:5]
	s_mov_b32 s15, 0xbfc7851a
	s_mov_b32 s14, s50
	;; [unrolled: 1-line block ×3, first 2 shown]
	v_fma_f64 v[82:83], v[74:75], s[50:51], v[0:1]
	v_fma_f64 v[0:1], v[74:75], s[14:15], v[0:1]
	v_add_f64 v[80:81], v[28:29], v[16:17]
	s_mov_b32 s6, 0x910ea3b9
	v_fma_f64 v[84:85], v[78:79], s[16:17], v[2:3]
	s_mov_b32 s21, 0x3fd71e95
	s_mov_b32 s20, s16
	;; [unrolled: 1-line block ×3, first 2 shown]
	v_add_f64 v[86:87], v[82:83], v[4:5]
	v_fma_f64 v[2:3], v[78:79], s[20:21], v[2:3]
	v_add_f64 v[0:1], v[0:1], v[4:5]
	v_add_f64 v[82:83], v[30:31], -v[18:19]
	v_mul_f64 v[88:89], v[80:81], s[6:7]
	s_mov_b32 s22, 0x4363dd80
	s_mov_b32 s10, 0x75d4884
	;; [unrolled: 1-line block ×3, first 2 shown]
	v_add_f64 v[86:87], v[84:85], v[86:87]
	v_add_f64 v[84:85], v[70:71], v[20:21]
	s_mov_b32 s49, 0x3fe0d888
	s_mov_b32 s48, s22
	;; [unrolled: 1-line block ×3, first 2 shown]
	v_add_f64 v[0:1], v[2:3], v[0:1]
	v_fma_f64 v[2:3], v[82:83], s[48:49], v[88:89]
	v_fma_f64 v[94:95], v[82:83], s[22:23], v[88:89]
	v_add_f64 v[88:89], v[72:73], -v[22:23]
	v_mul_f64 v[96:97], v[84:85], s[10:11]
	s_mov_b32 s46, 0x2a9d6da3
	s_mov_b32 s47, 0xbfe58eea
	v_mul_f64 v[124:125], v[64:65], s[6:7]
	s_mov_b32 s26, 0x2b2883cd
	v_add_f64 v[2:3], v[2:3], v[86:87]
	v_add_f64 v[0:1], v[94:95], v[0:1]
	s_mov_b32 s27, 0x3fdc86fa
	v_fma_f64 v[94:95], v[88:89], s[46:47], v[96:97]
	v_add_f64 v[86:87], v[32:33], v[66:67]
	v_mul_f64 v[116:117], v[76:77], s[26:27]
	s_mov_b32 s18, 0x6ed5f1bb
	s_mov_b32 s34, 0x7c9e640b
	;; [unrolled: 1-line block ×5, first 2 shown]
	v_add_f64 v[2:3], v[94:95], v[2:3]
	v_fma_f64 v[94:95], v[74:75], s[22:23], v[124:125]
	s_mov_b32 s19, 0xbfe348c8
	s_mov_b32 s35, 0x3feca52d
	;; [unrolled: 1-line block ×3, first 2 shown]
	v_fma_f64 v[98:99], v[88:89], s[24:25], v[96:97]
	v_add_f64 v[96:97], v[68:69], -v[34:35]
	v_mul_f64 v[100:101], v[86:87], s[18:19]
	v_fma_f64 v[106:107], v[78:79], s[34:35], v[116:117]
	v_add_f64 v[94:95], v[94:95], v[4:5]
	v_mul_f64 v[118:119], v[80:81], s[28:29]
	s_mov_b32 s36, 0x6c9a05f6
	s_mov_b32 s44, 0xeb564b22
	;; [unrolled: 1-line block ×4, first 2 shown]
	v_add_f64 v[0:1], v[98:99], v[0:1]
	v_fma_f64 v[102:103], v[96:97], s[36:37], v[100:101]
	v_add_f64 v[98:99], v[60:61], v[36:37]
	v_add_f64 v[94:95], v[106:107], v[94:95]
	v_fma_f64 v[106:107], v[82:83], s[44:45], v[118:119]
	v_mul_f64 v[120:121], v[84:85], s[18:19]
	s_mov_b32 s39, 0xbfe9895b
	s_mov_b32 s38, s36
	v_fma_f64 v[100:101], v[96:97], s[38:39], v[100:101]
	v_add_f64 v[104:105], v[62:63], -v[38:39]
	v_mul_f64 v[108:109], v[98:99], s[26:27]
	v_add_f64 v[2:3], v[102:103], v[2:3]
	v_add_f64 v[94:95], v[106:107], v[94:95]
	v_fma_f64 v[102:103], v[88:89], s[36:37], v[120:121]
	v_mul_f64 v[122:123], v[86:87], s[4:5]
	s_mov_b32 s55, 0xbfeca52d
	s_mov_b32 s54, s34
	v_add_f64 v[0:1], v[100:101], v[0:1]
	v_add_f64 v[100:101], v[40:41], v[56:57]
	v_fma_f64 v[112:113], v[104:105], s[54:55], v[108:109]
	v_mul_f64 v[110:111], v[98:99], s[2:3]
	v_add_f64 v[94:95], v[102:103], v[94:95]
	v_fma_f64 v[126:127], v[96:97], s[16:17], v[122:123]
	s_mov_b32 s30, 0xc61f0d01
	s_mov_b32 s31, 0xbfd183b1
	v_fma_f64 v[108:109], v[104:105], s[34:35], v[108:109]
	v_add_f64 v[106:107], v[58:59], -v[42:43]
	v_mul_f64 v[114:115], v[100:101], s[30:31]
	v_add_f64 v[2:3], v[112:113], v[2:3]
	v_add_f64 v[102:103], v[44:45], v[48:49]
	;; [unrolled: 1-line block ×3, first 2 shown]
	v_fma_f64 v[126:127], v[104:105], s[14:15], v[110:111]
	v_mul_f64 v[112:113], v[100:101], s[10:11]
	s_mov_b32 s56, 0x923c349f
	s_mov_b32 s57, 0x3feec746
	;; [unrolled: 1-line block ×4, first 2 shown]
	v_add_f64 v[0:1], v[108:109], v[0:1]
	v_fma_f64 v[128:129], v[106:107], s[56:57], v[114:115]
	v_fma_f64 v[130:131], v[106:107], s[40:41], v[114:115]
	v_add_f64 v[108:109], v[50:51], -v[46:47]
	v_mul_f64 v[132:133], v[102:103], s[28:29]
	v_add_f64 v[94:95], v[126:127], v[94:95]
	v_fma_f64 v[126:127], v[106:107], s[24:25], v[112:113]
	v_mul_f64 v[114:115], v[102:103], s[30:31]
	s_mov_b32 s43, 0x3fefdd0d
	s_mov_b32 s42, s44
	v_add_f64 v[2:3], v[128:129], v[2:3]
	v_add_f64 v[128:129], v[130:131], v[0:1]
	v_fma_f64 v[0:1], v[108:109], s[44:45], v[132:133]
	v_fma_f64 v[130:131], v[108:109], s[42:43], v[132:133]
	v_add_f64 v[94:95], v[126:127], v[94:95]
	v_fma_f64 v[126:127], v[108:109], s[40:41], v[114:115]
	v_add_f64 v[0:1], v[0:1], v[2:3]
	v_add_f64 v[2:3], v[130:131], v[128:129]
	;; [unrolled: 1-line block ×3, first 2 shown]
	s_and_saveexec_b64 s[52:53], s[0:1]
	s_cbranch_execz .LBB0_13
; %bb.12:
	v_mul_f64 v[126:127], v[74:75], s[22:23]
	v_mul_f64 v[128:129], v[74:75], s[38:39]
	;; [unrolled: 1-line block ×8, first 2 shown]
	v_add_f64 v[124:125], v[124:125], -v[126:127]
	v_fma_f64 v[126:127], v[64:65], s[18:19], v[128:129]
	v_fma_f64 v[128:129], v[64:65], s[18:19], -v[128:129]
	v_add_f64 v[116:117], v[116:117], -v[130:131]
	v_fma_f64 v[130:131], v[76:77], s[30:31], v[138:139]
	v_fma_f64 v[138:139], v[76:77], s[30:31], -v[138:139]
	v_add_f64 v[118:119], v[118:119], -v[132:133]
	v_mul_f64 v[148:149], v[88:89], s[22:23]
	v_add_f64 v[124:125], v[124:125], v[4:5]
	v_add_f64 v[126:127], v[126:127], v[4:5]
	;; [unrolled: 1-line block ×3, first 2 shown]
	v_fma_f64 v[132:133], v[80:81], s[4:5], v[144:145]
	v_add_f64 v[120:121], v[120:121], -v[134:135]
	v_mul_f64 v[140:141], v[104:105], s[14:15]
	v_add_f64 v[122:123], v[122:123], -v[136:137]
	v_fma_f64 v[134:135], v[84:85], s[6:7], v[148:149]
	v_add_f64 v[116:117], v[116:117], v[124:125]
	v_add_f64 v[124:125], v[130:131], v[126:127]
	v_fma_f64 v[126:127], v[80:81], s[4:5], -v[144:145]
	v_add_f64 v[128:129], v[138:139], v[128:129]
	v_mul_f64 v[138:139], v[96:97], s[42:43]
	v_mul_f64 v[142:143], v[106:107], s[24:25]
	v_add_f64 v[110:111], v[110:111], -v[140:141]
	v_mul_f64 v[146:147], v[108:109], s[40:41]
	v_add_f64 v[116:117], v[118:119], v[116:117]
	v_add_f64 v[118:119], v[132:133], v[124:125]
	v_fma_f64 v[124:125], v[84:85], s[6:7], -v[148:149]
	v_add_f64 v[126:127], v[126:127], v[128:129]
	v_mul_f64 v[132:133], v[104:105], s[46:47]
	v_fma_f64 v[136:137], v[86:87], s[28:29], v[138:139]
	v_mul_f64 v[128:129], v[106:107], s[14:15]
	v_add_f64 v[112:113], v[112:113], -v[142:143]
	v_add_f64 v[116:117], v[120:121], v[116:117]
	v_add_f64 v[118:119], v[134:135], v[118:119]
	v_fma_f64 v[120:121], v[86:87], s[28:29], -v[138:139]
	v_add_f64 v[124:125], v[124:125], v[126:127]
	v_mul_f64 v[134:135], v[74:75], s[40:41]
	v_fma_f64 v[138:139], v[98:99], s[10:11], v[132:133]
	v_mul_f64 v[130:131], v[108:109], s[34:35]
	v_mul_f64 v[126:127], v[82:83], s[24:25]
	v_add_f64 v[116:117], v[122:123], v[116:117]
	v_add_f64 v[118:119], v[136:137], v[118:119]
	v_fma_f64 v[122:123], v[98:99], s[10:11], -v[132:133]
	v_add_f64 v[120:121], v[120:121], v[124:125]
	v_mul_f64 v[124:125], v[78:79], s[48:49]
	v_fma_f64 v[136:137], v[64:65], s[30:31], v[134:135]
	v_fma_f64 v[132:133], v[100:101], s[2:3], v[128:129]
	v_add_f64 v[114:115], v[114:115], -v[146:147]
	v_add_f64 v[110:111], v[110:111], v[116:117]
	v_add_f64 v[116:117], v[138:139], v[118:119]
	v_fma_f64 v[118:119], v[100:101], s[2:3], -v[128:129]
	v_add_f64 v[120:121], v[122:123], v[120:121]
	v_fma_f64 v[128:129], v[76:77], s[6:7], v[124:125]
	v_add_f64 v[136:137], v[136:137], v[4:5]
	v_fma_f64 v[122:123], v[102:103], s[26:27], v[130:131]
	v_fma_f64 v[134:135], v[64:65], s[30:31], -v[134:135]
	v_add_f64 v[110:111], v[112:113], v[110:111]
	v_add_f64 v[112:113], v[132:133], v[116:117]
	v_fma_f64 v[116:117], v[102:103], s[26:27], -v[130:131]
	v_add_f64 v[118:119], v[118:119], v[120:121]
	v_mul_f64 v[130:131], v[88:89], s[54:55]
	v_fma_f64 v[132:133], v[80:81], s[10:11], v[126:127]
	v_add_f64 v[128:129], v[128:129], v[136:137]
	v_mul_f64 v[136:137], v[78:79], s[14:15]
	v_add_f64 v[110:111], v[114:115], v[110:111]
	v_mul_f64 v[114:115], v[74:75], s[44:45]
	v_add_f64 v[112:113], v[122:123], v[112:113]
	v_add_f64 v[116:117], v[116:117], v[118:119]
	v_mul_f64 v[118:119], v[96:97], s[14:15]
	v_fma_f64 v[122:123], v[84:85], s[26:27], v[130:131]
	v_add_f64 v[128:129], v[132:133], v[128:129]
	v_fma_f64 v[124:125], v[76:77], s[6:7], -v[124:125]
	v_add_f64 v[134:135], v[134:135], v[4:5]
	v_fma_f64 v[138:139], v[64:65], s[28:29], v[114:115]
	v_mul_f64 v[140:141], v[104:105], s[42:43]
	v_fma_f64 v[144:145], v[76:77], s[2:3], v[136:137]
	v_fma_f64 v[142:143], v[86:87], s[2:3], v[118:119]
	v_fma_f64 v[126:127], v[80:81], s[10:11], -v[126:127]
	v_add_f64 v[122:123], v[122:123], v[128:129]
	v_mul_f64 v[128:129], v[82:83], s[56:57]
	v_add_f64 v[124:125], v[124:125], v[134:135]
	v_add_f64 v[138:139], v[138:139], v[4:5]
	v_mul_f64 v[146:147], v[106:107], s[16:17]
	v_fma_f64 v[148:149], v[98:99], s[28:29], v[140:141]
	v_mul_f64 v[134:135], v[88:89], s[20:21]
	v_fma_f64 v[114:115], v[64:65], s[28:29], -v[114:115]
	v_add_f64 v[122:123], v[142:143], v[122:123]
	v_fma_f64 v[142:143], v[80:81], s[30:31], v[128:129]
	v_fma_f64 v[130:131], v[84:85], s[26:27], -v[130:131]
	v_add_f64 v[138:139], v[144:145], v[138:139]
	v_add_f64 v[124:125], v[126:127], v[124:125]
	v_mul_f64 v[120:121], v[108:109], s[38:39]
	v_fma_f64 v[144:145], v[100:101], s[4:5], v[146:147]
	v_mul_f64 v[126:127], v[96:97], s[54:55]
	v_add_f64 v[122:123], v[148:149], v[122:123]
	v_fma_f64 v[148:149], v[84:85], s[4:5], v[134:135]
	v_fma_f64 v[136:137], v[76:77], s[2:3], -v[136:137]
	v_add_f64 v[138:139], v[142:143], v[138:139]
	v_add_f64 v[114:115], v[114:115], v[4:5]
	v_fma_f64 v[118:119], v[86:87], s[2:3], -v[118:119]
	v_add_f64 v[124:125], v[130:131], v[124:125]
	v_fma_f64 v[132:133], v[102:103], s[18:19], v[120:121]
	v_add_f64 v[122:123], v[144:145], v[122:123]
	v_mul_f64 v[130:131], v[104:105], s[22:23]
	v_fma_f64 v[142:143], v[86:87], s[26:27], v[126:127]
	v_add_f64 v[138:139], v[148:149], v[138:139]
	v_fma_f64 v[128:129], v[80:81], s[30:31], -v[128:129]
	v_add_f64 v[114:115], v[136:137], v[114:115]
	v_fma_f64 v[136:137], v[98:99], s[28:29], -v[140:141]
	v_add_f64 v[118:119], v[118:119], v[124:125]
	v_add_f64 v[122:123], v[132:133], v[122:123]
	v_mul_f64 v[124:125], v[106:107], s[36:37]
	v_fma_f64 v[132:133], v[98:99], s[6:7], v[130:131]
	v_add_f64 v[138:139], v[142:143], v[138:139]
	v_fma_f64 v[134:135], v[84:85], s[4:5], -v[134:135]
	v_add_f64 v[114:115], v[128:129], v[114:115]
	v_fma_f64 v[128:129], v[100:101], s[4:5], -v[146:147]
	v_add_f64 v[118:119], v[136:137], v[118:119]
	v_mul_f64 v[136:137], v[74:75], s[54:55]
	v_mul_f64 v[140:141], v[108:109], s[24:25]
	v_fma_f64 v[142:143], v[100:101], s[18:19], v[124:125]
	v_add_f64 v[132:133], v[132:133], v[138:139]
	v_fma_f64 v[126:127], v[86:87], s[26:27], -v[126:127]
	v_add_f64 v[114:115], v[134:135], v[114:115]
	v_fma_f64 v[120:121], v[102:103], s[18:19], -v[120:121]
	v_mul_f64 v[134:135], v[78:79], s[38:39]
	v_fma_f64 v[138:139], v[64:65], s[26:27], v[136:137]
	v_add_f64 v[118:119], v[128:129], v[118:119]
	v_fma_f64 v[128:129], v[102:103], s[10:11], v[140:141]
	v_add_f64 v[132:133], v[142:143], v[132:133]
	v_fma_f64 v[130:131], v[98:99], s[6:7], -v[130:131]
	v_add_f64 v[114:115], v[126:127], v[114:115]
	v_mul_f64 v[126:127], v[82:83], s[50:51]
	v_fma_f64 v[142:143], v[76:77], s[18:19], v[134:135]
	v_add_f64 v[138:139], v[138:139], v[4:5]
	v_add_f64 v[118:119], v[120:121], v[118:119]
	v_fma_f64 v[120:121], v[64:65], s[26:27], -v[136:137]
	v_add_f64 v[128:129], v[128:129], v[132:133]
	v_fma_f64 v[134:135], v[76:77], s[18:19], -v[134:135]
	v_fma_f64 v[124:125], v[100:101], s[18:19], -v[124:125]
	v_fma_f64 v[132:133], v[80:81], s[2:3], v[126:127]
	v_add_f64 v[114:115], v[130:131], v[114:115]
	v_add_f64 v[136:137], v[142:143], v[138:139]
	v_fma_f64 v[138:139], v[102:103], s[10:11], -v[140:141]
	v_add_f64 v[120:121], v[120:121], v[4:5]
	v_add_f64 v[140:141], v[24:25], v[4:5]
	v_mul_f64 v[130:131], v[88:89], s[56:57]
	v_fma_f64 v[126:127], v[80:81], s[2:3], -v[126:127]
	v_mul_f64 v[144:145], v[74:75], s[46:47]
	v_add_f64 v[114:115], v[124:125], v[114:115]
	v_add_f64 v[132:133], v[132:133], v[136:137]
	v_mul_f64 v[124:125], v[96:97], s[24:25]
	v_add_f64 v[120:121], v[134:135], v[120:121]
	v_add_f64 v[136:137], v[52:53], v[140:141]
	v_fma_f64 v[142:143], v[84:85], s[30:31], v[130:131]
	v_fma_f64 v[130:131], v[84:85], s[30:31], -v[130:131]
	v_mul_f64 v[140:141], v[104:105], s[16:17]
	v_fma_f64 v[148:149], v[64:65], s[10:11], v[144:145]
	v_mul_f64 v[74:75], v[74:75], s[16:17]
	v_fma_f64 v[146:147], v[86:87], s[10:11], v[124:125]
	v_add_f64 v[120:121], v[126:127], v[120:121]
	v_add_f64 v[136:137], v[28:29], v[136:137]
	;; [unrolled: 1-line block ×3, first 2 shown]
	v_mul_f64 v[142:143], v[78:79], s[44:45]
	v_fma_f64 v[124:125], v[86:87], s[10:11], -v[124:125]
	v_mul_f64 v[126:127], v[106:107], s[44:45]
	v_fma_f64 v[150:151], v[98:99], s[4:5], v[140:141]
	v_add_f64 v[148:149], v[148:149], v[4:5]
	v_add_f64 v[120:121], v[130:131], v[120:121]
	;; [unrolled: 1-line block ×4, first 2 shown]
	v_mul_f64 v[130:131], v[82:83], s[38:39]
	v_fma_f64 v[146:147], v[76:77], s[28:29], v[142:143]
	v_fma_f64 v[140:141], v[98:99], s[4:5], -v[140:141]
	v_fma_f64 v[152:153], v[100:101], s[28:29], v[126:127]
	v_fma_f64 v[126:127], v[100:101], s[28:29], -v[126:127]
	v_add_f64 v[120:121], v[124:125], v[120:121]
	v_add_f64 v[136:137], v[66:67], v[136:137]
	;; [unrolled: 1-line block ×3, first 2 shown]
	v_mul_f64 v[124:125], v[88:89], s[14:15]
	v_fma_f64 v[150:151], v[80:81], s[18:19], v[130:131]
	v_add_f64 v[146:147], v[146:147], v[148:149]
	v_mul_f64 v[78:79], v[78:79], s[46:47]
	v_fma_f64 v[160:161], v[64:65], s[4:5], -v[74:75]
	v_add_f64 v[120:121], v[140:141], v[120:121]
	v_add_f64 v[136:137], v[60:61], v[136:137]
	;; [unrolled: 1-line block ×3, first 2 shown]
	v_mul_f64 v[140:141], v[96:97], s[48:49]
	v_fma_f64 v[152:153], v[84:85], s[2:3], v[124:125]
	v_add_f64 v[146:147], v[150:151], v[146:147]
	v_fma_f64 v[144:145], v[64:65], s[10:11], -v[144:145]
	v_mul_f64 v[82:83], v[82:83], s[54:55]
	v_add_f64 v[120:121], v[126:127], v[120:121]
	v_add_f64 v[126:127], v[56:57], v[136:137]
	v_fma_f64 v[64:65], v[64:65], s[4:5], v[74:75]
	v_fma_f64 v[136:137], v[86:87], s[6:7], v[140:141]
	v_fma_f64 v[74:75], v[76:77], s[10:11], -v[78:79]
	v_add_f64 v[146:147], v[152:153], v[146:147]
	v_fma_f64 v[142:143], v[76:77], s[28:29], -v[142:143]
	v_add_f64 v[144:145], v[144:145], v[4:5]
	v_mul_f64 v[88:89], v[88:89], s[44:45]
	v_add_f64 v[126:127], v[48:49], v[126:127]
	v_fma_f64 v[76:77], v[76:77], s[10:11], v[78:79]
	v_fma_f64 v[130:131], v[80:81], s[18:19], -v[130:131]
	v_mul_f64 v[96:97], v[96:97], s[40:41]
	v_add_f64 v[136:137], v[136:137], v[146:147]
	v_add_f64 v[146:147], v[160:161], v[4:5]
	;; [unrolled: 1-line block ×3, first 2 shown]
	v_fma_f64 v[64:65], v[80:81], s[26:27], -v[82:83]
	v_add_f64 v[126:127], v[44:45], v[126:127]
	v_fma_f64 v[80:81], v[80:81], s[26:27], v[82:83]
	v_fma_f64 v[124:125], v[84:85], s[2:3], -v[124:125]
	v_mul_f64 v[154:155], v[104:105], s[56:57]
	v_mul_f64 v[104:105], v[104:105], s[38:39]
	v_add_f64 v[74:75], v[74:75], v[146:147]
	v_add_f64 v[4:5], v[76:77], v[4:5]
	v_fma_f64 v[76:77], v[84:85], s[28:29], -v[88:89]
	v_add_f64 v[78:79], v[40:41], v[126:127]
	v_add_f64 v[126:127], v[142:143], v[144:145]
	v_fma_f64 v[84:85], v[84:85], s[28:29], v[88:89]
	v_fma_f64 v[82:83], v[86:87], s[6:7], -v[140:141]
	v_mul_f64 v[88:89], v[106:107], s[22:23]
	v_add_f64 v[64:65], v[64:65], v[74:75]
	v_add_f64 v[4:5], v[80:81], v[4:5]
	v_fma_f64 v[80:81], v[86:87], s[30:31], -v[96:97]
	v_add_f64 v[74:75], v[36:37], v[78:79]
	v_add_f64 v[78:79], v[130:131], v[126:127]
	v_fma_f64 v[86:87], v[86:87], s[30:31], v[96:97]
	v_mul_f64 v[150:151], v[106:107], s[34:35]
	v_fma_f64 v[158:159], v[98:99], s[30:31], v[154:155]
	v_add_f64 v[64:65], v[76:77], v[64:65]
	v_add_f64 v[4:5], v[84:85], v[4:5]
	v_fma_f64 v[84:85], v[98:99], s[18:19], -v[104:105]
	v_add_f64 v[74:75], v[32:33], v[74:75]
	v_add_f64 v[76:77], v[124:125], v[78:79]
	v_fma_f64 v[78:79], v[98:99], s[30:31], -v[154:155]
	v_fma_f64 v[96:97], v[98:99], s[18:19], v[104:105]
	v_mul_f64 v[134:135], v[108:109], s[22:23]
	v_add_f64 v[64:65], v[80:81], v[64:65]
	v_add_f64 v[4:5], v[86:87], v[4:5]
	v_fma_f64 v[86:87], v[100:101], s[6:7], -v[88:89]
	v_add_f64 v[74:75], v[20:21], v[74:75]
	v_add_f64 v[76:77], v[82:83], v[76:77]
	v_mul_f64 v[82:83], v[108:109], s[14:15]
	v_mul_f64 v[152:153], v[108:109], s[20:21]
	v_fma_f64 v[80:81], v[100:101], s[26:27], -v[150:151]
	v_add_f64 v[64:65], v[84:85], v[64:65]
	v_fma_f64 v[156:157], v[100:101], s[26:27], v[150:151]
	v_fma_f64 v[88:89], v[100:101], s[6:7], v[88:89]
	v_add_f64 v[74:75], v[16:17], v[74:75]
	v_add_f64 v[76:77], v[78:79], v[76:77]
	;; [unrolled: 1-line block ×4, first 2 shown]
	v_fma_f64 v[96:97], v[102:103], s[2:3], -v[82:83]
	v_add_f64 v[64:65], v[86:87], v[64:65]
	v_fma_f64 v[148:149], v[102:103], s[6:7], v[134:135]
	v_fma_f64 v[134:135], v[102:103], s[6:7], -v[134:135]
	v_add_f64 v[74:75], v[12:13], v[74:75]
	v_fma_f64 v[84:85], v[102:103], s[4:5], -v[152:153]
	v_add_f64 v[76:77], v[80:81], v[76:77]
	v_fma_f64 v[80:81], v[102:103], s[4:5], v[152:153]
	v_add_f64 v[78:79], v[156:157], v[78:79]
	v_fma_f64 v[82:83], v[102:103], s[2:3], v[82:83]
	v_add_f64 v[4:5], v[88:89], v[4:5]
	v_add_f64 v[64:65], v[96:97], v[64:65]
	;; [unrolled: 1-line block ×6, first 2 shown]
	s_movk_i32 s33, 0x88
	v_add_f64 v[88:89], v[148:149], v[132:133]
	v_add_f64 v[78:79], v[80:81], v[78:79]
	v_mad_u32_u24 v80, v90, s33, 0
	v_add_f64 v[4:5], v[82:83], v[4:5]
	ds_write2_b64 v80, v[74:75], v[64:65] offset1:1
	ds_write2_b64 v80, v[76:77], v[86:87] offset0:2 offset1:3
	ds_write2_b64 v80, v[84:85], v[118:119] offset0:4 offset1:5
	;; [unrolled: 1-line block ×7, first 2 shown]
	ds_write_b64 v80, v[4:5] offset:128
.LBB0_13:
	s_or_b64 exec, exec, s[52:53]
	v_add_f64 v[112:113], v[24:25], -v[8:9]
	v_add_f64 v[108:109], v[26:27], v[10:11]
	v_add_f64 v[110:111], v[52:53], -v[12:13]
	v_add_f64 v[106:107], v[14:15], v[54:55]
	v_add_f64 v[102:103], v[28:29], -v[16:17]
	v_add_f64 v[98:99], v[70:71], -v[20:21]
	v_add_f64 v[100:101], v[30:31], v[18:19]
	v_add_f64 v[70:71], v[66:67], -v[32:33]
	v_mul_f64 v[114:115], v[112:113], s[22:23]
	v_mul_f64 v[4:5], v[112:113], s[14:15]
	;; [unrolled: 1-line block ×4, first 2 shown]
	v_add_f64 v[32:33], v[60:61], -v[36:37]
	v_add_f64 v[16:17], v[56:57], -v[40:41]
	v_mul_f64 v[104:105], v[102:103], s[44:45]
	v_mul_f64 v[24:25], v[102:103], s[22:23]
	v_fma_f64 v[12:13], v[108:109], s[6:7], -v[114:115]
	v_fma_f64 v[20:21], v[108:109], s[2:3], v[4:5]
	v_fma_f64 v[4:5], v[108:109], s[2:3], -v[4:5]
	v_fma_f64 v[36:37], v[106:107], s[26:27], -v[116:117]
	v_fma_f64 v[40:41], v[106:107], s[4:5], v[8:9]
	v_fma_f64 v[8:9], v[106:107], s[4:5], -v[8:9]
	v_add_f64 v[96:97], v[72:73], v[22:23]
	v_mul_f64 v[60:61], v[98:99], s[36:37]
	v_add_f64 v[12:13], v[12:13], v[6:7]
	v_add_f64 v[20:21], v[20:21], v[6:7]
	;; [unrolled: 1-line block ×3, first 2 shown]
	v_mul_f64 v[64:65], v[98:99], s[24:25]
	v_fma_f64 v[66:67], v[100:101], s[28:29], -v[104:105]
	v_fma_f64 v[74:75], v[100:101], s[6:7], v[24:25]
	v_fma_f64 v[24:25], v[100:101], s[6:7], -v[24:25]
	v_add_f64 v[52:53], v[34:35], v[68:69]
	v_add_f64 v[12:13], v[12:13], v[36:37]
	;; [unrolled: 1-line block ×4, first 2 shown]
	v_mul_f64 v[56:57], v[70:71], s[16:17]
	v_mul_f64 v[36:37], v[70:71], s[38:39]
	v_fma_f64 v[76:77], v[96:97], s[18:19], -v[60:61]
	v_fma_f64 v[78:79], v[96:97], s[10:11], v[64:65]
	v_fma_f64 v[64:65], v[96:97], s[10:11], -v[64:65]
	v_add_f64 v[8:9], v[66:67], v[12:13]
	v_add_f64 v[12:13], v[74:75], v[20:21]
	;; [unrolled: 1-line block ×4, first 2 shown]
	v_mul_f64 v[40:41], v[32:33], s[14:15]
	v_mul_f64 v[66:67], v[32:33], s[34:35]
	v_fma_f64 v[74:75], v[52:53], s[4:5], -v[56:57]
	v_fma_f64 v[80:81], v[52:53], s[18:19], v[36:37]
	v_add_f64 v[8:9], v[76:77], v[8:9]
	v_add_f64 v[12:13], v[78:79], v[12:13]
	v_fma_f64 v[36:37], v[52:53], s[18:19], -v[36:37]
	v_add_f64 v[4:5], v[64:65], v[4:5]
	v_add_f64 v[20:21], v[42:43], v[58:59]
	v_mul_f64 v[24:25], v[16:17], s[24:25]
	v_fma_f64 v[76:77], v[28:29], s[2:3], -v[40:41]
	v_fma_f64 v[78:79], v[28:29], s[26:27], v[66:67]
	v_add_f64 v[8:9], v[74:75], v[8:9]
	v_add_f64 v[64:65], v[80:81], v[12:13]
	v_mul_f64 v[74:75], v[16:17], s[40:41]
	v_add_f64 v[12:13], v[48:49], -v[44:45]
	v_fma_f64 v[44:45], v[28:29], s[26:27], -v[66:67]
	v_add_f64 v[36:37], v[36:37], v[4:5]
	v_fma_f64 v[48:49], v[20:21], s[10:11], -v[24:25]
	v_add_f64 v[4:5], v[46:47], v[50:51]
	v_add_f64 v[66:67], v[76:77], v[8:9]
	;; [unrolled: 1-line block ×3, first 2 shown]
	v_fma_f64 v[76:77], v[20:21], s[30:31], v[74:75]
	v_mul_f64 v[8:9], v[12:13], s[40:41]
	v_mul_f64 v[78:79], v[12:13], s[42:43]
	v_fma_f64 v[74:75], v[20:21], s[30:31], -v[74:75]
	v_add_f64 v[36:37], v[44:45], v[36:37]
	v_lshl_add_u32 v91, v90, 3, 0
	v_add_f64 v[44:45], v[48:49], v[66:67]
	v_add_u32_e32 v118, 0x2200, v91
	v_add_f64 v[48:49], v[76:77], v[64:65]
	v_fma_f64 v[64:65], v[4:5], s[30:31], -v[8:9]
	v_fma_f64 v[66:67], v[4:5], s[28:29], v[78:79]
	v_fma_f64 v[76:77], v[4:5], s[28:29], -v[78:79]
	v_add_f64 v[74:75], v[74:75], v[36:37]
	s_waitcnt lgkmcnt(0)
	s_barrier
	ds_read2_b64 v[78:81], v91 offset1:187
	v_add_f64 v[36:37], v[64:65], v[44:45]
	v_add_f64 v[64:65], v[66:67], v[48:49]
	v_add_u32_e32 v48, 0xa00, v91
	v_add_f64 v[66:67], v[76:77], v[74:75]
	v_add_u32_e32 v49, 0x1600, v91
	ds_read2_b64 v[86:89], v48 offset0:54 offset1:241
	ds_read2_b64 v[74:77], v49 offset0:44 offset1:231
	;; [unrolled: 1-line block ×3, first 2 shown]
	s_waitcnt lgkmcnt(0)
	s_barrier
	s_and_saveexec_b64 s[14:15], s[0:1]
	s_cbranch_execz .LBB0_15
; %bb.14:
	v_add_f64 v[26:27], v[26:27], v[6:7]
	v_mul_f64 v[123:124], v[100:101], s[28:29]
	v_mul_f64 v[125:126], v[96:97], s[18:19]
	s_mov_b32 s28, 0x2a9d6da3
	s_mov_b32 s24, 0xeb564b22
	;; [unrolled: 1-line block ×4, first 2 shown]
	v_mul_f64 v[127:128], v[52:53], s[4:5]
	v_add_f64 v[54:55], v[54:55], v[26:27]
	s_mov_b32 s29, 0xbfe58eea
	s_mov_b32 s5, 0xbfeca52d
	;; [unrolled: 1-line block ×6, first 2 shown]
	v_mul_f64 v[119:120], v[108:109], s[6:7]
	v_add_f64 v[30:31], v[30:31], v[54:55]
	v_mul_f64 v[121:122], v[106:107], s[26:27]
	v_mul_f64 v[54:55], v[112:113], s[16:17]
	;; [unrolled: 1-line block ×5, first 2 shown]
	s_mov_b32 s6, 0x370991
	s_mov_b32 s0, 0x75d4884
	v_add_f64 v[30:31], v[72:73], v[30:31]
	v_mul_f64 v[72:73], v[112:113], s[38:39]
	s_mov_b32 s2, 0x2b2883cd
	s_mov_b32 s22, 0x3259b75e
	s_mov_b32 s34, 0xc61f0d01
	s_mov_b32 s10, 0x6ed5f1bb
	s_mov_b32 s30, 0xacd6c6b4
	s_mov_b32 s44, 0x4363dd80
	v_add_f64 v[30:31], v[68:69], v[30:31]
	v_mul_f64 v[68:69], v[112:113], s[24:25]
	s_mov_b32 s7, 0x3fedd6d0
	s_mov_b32 s1, 0x3fe7a5f6
	s_mov_b32 s3, 0x3fdc86fa
	s_mov_b32 s23, 0x3fb79ee6
	;; [unrolled: 8-line block ×3, first 2 shown]
	v_mul_f64 v[131:132], v[110:111], s[28:29]
	v_mul_f64 v[133:134], v[110:111], s[24:25]
	v_add_f64 v[30:31], v[58:59], v[30:31]
	v_mul_f64 v[58:59], v[112:113], s[28:29]
	v_mul_f64 v[112:113], v[112:113], s[18:19]
	;; [unrolled: 1-line block ×4, first 2 shown]
	v_add_f64 v[114:115], v[119:120], v[114:115]
	v_fma_f64 v[141:142], v[108:109], s[34:35], v[72:73]
	v_fma_f64 v[72:73], v[108:109], s[34:35], -v[72:73]
	v_add_f64 v[30:31], v[50:51], v[30:31]
	v_mul_f64 v[50:51], v[110:111], s[18:19]
	v_mul_f64 v[110:111], v[110:111], s[40:41]
	v_fma_f64 v[119:120], v[108:109], s[0:1], v[58:59]
	v_fma_f64 v[58:59], v[108:109], s[0:1], -v[58:59]
	v_fma_f64 v[143:144], v[108:109], s[10:11], v[112:113]
	s_mov_b32 s26, 0x7faef3
	s_mov_b32 s27, 0xbfef7484
	v_add_f64 v[30:31], v[46:47], v[30:31]
	v_add_f64 v[46:47], v[121:122], v[116:117]
	v_fma_f64 v[116:117], v[108:109], s[6:7], v[54:55]
	v_fma_f64 v[54:55], v[108:109], s[6:7], -v[54:55]
	v_fma_f64 v[121:122], v[108:109], s[2:3], v[62:63]
	v_fma_f64 v[62:63], v[108:109], s[2:3], -v[62:63]
	v_mul_f64 v[139:140], v[102:103], s[4:5]
	v_fma_f64 v[145:146], v[106:107], s[10:11], v[50:51]
	v_add_f64 v[30:31], v[42:43], v[30:31]
	v_fma_f64 v[42:43], v[108:109], s[22:23], v[68:69]
	v_fma_f64 v[68:69], v[108:109], s[22:23], -v[68:69]
	v_fma_f64 v[108:109], v[108:109], s[10:11], -v[112:113]
	v_fma_f64 v[112:113], v[106:107], s[0:1], v[131:132]
	v_fma_f64 v[50:51], v[106:107], s[10:11], -v[50:51]
	v_fma_f64 v[147:148], v[106:107], s[26:27], v[135:136]
	v_fma_f64 v[135:136], v[106:107], s[26:27], -v[135:136]
	v_add_f64 v[30:31], v[38:39], v[30:31]
	v_fma_f64 v[38:39], v[106:107], s[0:1], -v[131:132]
	v_fma_f64 v[131:132], v[106:107], s[22:23], v[133:134]
	v_fma_f64 v[133:134], v[106:107], s[22:23], -v[133:134]
	v_fma_f64 v[149:150], v[106:107], s[34:35], v[110:111]
	v_add_f64 v[54:55], v[54:55], v[6:7]
	v_add_f64 v[58:59], v[58:59], v[6:7]
	;; [unrolled: 1-line block ×5, first 2 shown]
	s_mov_b32 s20, 0x910ea3b9
	s_mov_b32 s21, 0xbfeb34fa
	v_fma_f64 v[34:35], v[106:107], s[20:21], v[137:138]
	v_fma_f64 v[137:138], v[106:107], s[20:21], -v[137:138]
	v_fma_f64 v[106:107], v[106:107], s[34:35], -v[110:111]
	v_add_f64 v[110:111], v[114:115], v[6:7]
	v_add_f64 v[22:23], v[22:23], v[30:31]
	;; [unrolled: 1-line block ×15, first 2 shown]
	v_fma_f64 v[68:69], v[100:101], s[2:3], -v[139:140]
	s_mov_b32 s37, 0x3fc7851a
	v_add_f64 v[14:15], v[14:15], v[18:19]
	s_mov_b32 s36, s30
	v_add_f64 v[62:63], v[72:73], v[149:150]
	v_mul_f64 v[72:73], v[102:103], s[18:19]
	v_add_f64 v[108:109], v[114:115], v[112:113]
	v_add_f64 v[30:31], v[30:31], v[131:132]
	v_mul_f64 v[112:113], v[102:103], s[36:37]
	v_add_f64 v[6:7], v[6:7], v[106:107]
	v_add_f64 v[10:11], v[10:11], v[14:15]
	v_fma_f64 v[14:15], v[100:101], s[2:3], v[139:140]
	v_mul_f64 v[106:107], v[102:103], s[40:41]
	v_add_f64 v[38:39], v[68:69], v[38:39]
	v_fma_f64 v[68:69], v[100:101], s[10:11], v[72:73]
	v_fma_f64 v[72:73], v[100:101], s[10:11], -v[72:73]
	s_mov_b32 s37, 0x3fe58eea
	s_mov_b32 s36, s28
	v_add_f64 v[18:19], v[116:117], v[145:146]
	v_add_f64 v[14:15], v[14:15], v[108:109]
	v_fma_f64 v[108:109], v[100:101], s[26:27], v[112:113]
	v_mul_f64 v[114:115], v[102:103], s[36:37]
	v_add_f64 v[30:31], v[68:69], v[30:31]
	v_mul_f64 v[68:69], v[102:103], s[16:17]
	v_add_f64 v[54:55], v[72:73], v[54:55]
	v_fma_f64 v[72:73], v[100:101], s[34:35], -v[106:107]
	v_add_f64 v[34:35], v[119:120], v[34:35]
	v_add_f64 v[46:47], v[110:111], v[46:47]
	v_fma_f64 v[110:111], v[100:101], s[26:27], -v[112:113]
	v_fma_f64 v[112:113], v[100:101], s[34:35], v[106:107]
	v_add_f64 v[18:19], v[108:109], v[18:19]
	v_fma_f64 v[102:103], v[100:101], s[0:1], v[114:115]
	v_fma_f64 v[106:107], v[100:101], s[0:1], -v[114:115]
	v_fma_f64 v[108:109], v[100:101], s[6:7], v[68:69]
	v_fma_f64 v[68:69], v[100:101], s[6:7], -v[68:69]
	v_mul_f64 v[100:101], v[98:99], s[24:25]
	v_add_f64 v[58:59], v[72:73], v[58:59]
	v_mul_f64 v[72:73], v[98:99], s[30:31]
	v_add_f64 v[104:105], v[123:124], v[104:105]
	v_add_f64 v[22:23], v[22:23], v[137:138]
	;; [unrolled: 1-line block ×3, first 2 shown]
	s_mov_b32 s43, 0x3fd71e95
	v_add_f64 v[6:7], v[68:69], v[6:7]
	v_fma_f64 v[68:69], v[96:97], s[22:23], v[100:101]
	s_mov_b32 s42, s16
	v_fma_f64 v[102:103], v[96:97], s[26:27], v[72:73]
	v_add_f64 v[46:47], v[104:105], v[46:47]
	v_mul_f64 v[104:105], v[98:99], s[40:41]
	v_add_f64 v[42:43], v[42:43], v[147:148]
	v_add_f64 v[22:23], v[106:107], v[22:23]
	v_fma_f64 v[100:101], v[96:97], s[22:23], -v[100:101]
	v_mul_f64 v[106:107], v[98:99], s[42:43]
	v_add_f64 v[14:15], v[68:69], v[14:15]
	v_add_f64 v[30:31], v[102:103], v[30:31]
	v_fma_f64 v[68:69], v[96:97], s[26:27], -v[72:73]
	v_fma_f64 v[72:73], v[96:97], s[34:35], v[104:105]
	v_mul_f64 v[102:103], v[98:99], s[4:5]
	s_mov_b32 s47, 0xbfe0d888
	s_mov_b32 s46, s44
	v_add_f64 v[50:51], v[110:111], v[50:51]
	v_add_f64 v[42:43], v[112:113], v[42:43]
	;; [unrolled: 1-line block ×3, first 2 shown]
	v_fma_f64 v[100:101], v[96:97], s[34:35], -v[104:105]
	v_fma_f64 v[104:105], v[96:97], s[6:7], v[106:107]
	v_mul_f64 v[98:99], v[98:99], s[46:47]
	v_add_f64 v[54:55], v[68:69], v[54:55]
	v_fma_f64 v[68:69], v[96:97], s[6:7], -v[106:107]
	v_add_f64 v[18:19], v[72:73], v[18:19]
	v_fma_f64 v[72:73], v[96:97], s[2:3], v[102:103]
	v_add_f64 v[60:61], v[125:126], v[60:61]
	v_add_f64 v[50:51], v[100:101], v[50:51]
	v_fma_f64 v[100:101], v[96:97], s[2:3], -v[102:103]
	v_add_f64 v[42:43], v[104:105], v[42:43]
	v_mul_f64 v[104:105], v[70:71], s[38:39]
	v_add_f64 v[58:59], v[68:69], v[58:59]
	v_mul_f64 v[68:69], v[70:71], s[44:45]
	v_add_f64 v[34:35], v[72:73], v[34:35]
	v_fma_f64 v[72:73], v[96:97], s[20:21], -v[98:99]
	v_fma_f64 v[102:103], v[96:97], s[20:21], v[98:99]
	v_add_f64 v[22:23], v[100:101], v[22:23]
	v_add_f64 v[46:47], v[60:61], v[46:47]
	v_fma_f64 v[96:97], v[52:53], s[34:35], v[104:105]
	v_fma_f64 v[98:99], v[52:53], s[34:35], -v[104:105]
	v_fma_f64 v[100:101], v[52:53], s[20:21], v[68:69]
	v_fma_f64 v[68:69], v[52:53], s[20:21], -v[68:69]
	v_add_f64 v[6:7], v[72:73], v[6:7]
	v_mul_f64 v[72:73], v[70:71], s[36:37]
	v_mul_f64 v[60:61], v[70:71], s[4:5]
	s_mov_b32 s39, 0x3fefdd0d
	s_mov_b32 s38, s24
	v_add_f64 v[14:15], v[96:97], v[14:15]
	v_add_f64 v[38:39], v[98:99], v[38:39]
	;; [unrolled: 1-line block ×3, first 2 shown]
	v_mul_f64 v[68:69], v[70:71], s[30:31]
	v_fma_f64 v[96:97], v[52:53], s[0:1], v[72:73]
	v_fma_f64 v[72:73], v[52:53], s[0:1], -v[72:73]
	v_fma_f64 v[98:99], v[52:53], s[2:3], v[60:61]
	v_mul_f64 v[70:71], v[70:71], s[38:39]
	v_fma_f64 v[60:61], v[52:53], s[2:3], -v[60:61]
	v_add_f64 v[30:31], v[100:101], v[30:31]
	v_add_f64 v[56:57], v[127:128], v[56:57]
	v_fma_f64 v[100:101], v[52:53], s[26:27], v[68:69]
	v_add_f64 v[18:19], v[96:97], v[18:19]
	v_add_f64 v[50:51], v[72:73], v[50:51]
	v_mul_f64 v[72:73], v[32:33], s[18:19]
	v_fma_f64 v[68:69], v[52:53], s[26:27], -v[68:69]
	v_fma_f64 v[96:97], v[52:53], s[22:23], v[70:71]
	v_add_f64 v[58:59], v[60:61], v[58:59]
	v_fma_f64 v[52:53], v[52:53], s[22:23], -v[70:71]
	v_mul_f64 v[60:61], v[32:33], s[40:41]
	v_add_f64 v[46:47], v[56:57], v[46:47]
	v_add_f64 v[42:43], v[98:99], v[42:43]
	v_fma_f64 v[70:71], v[28:29], s[10:11], v[72:73]
	v_add_f64 v[22:23], v[68:69], v[22:23]
	v_fma_f64 v[68:69], v[28:29], s[10:11], -v[72:73]
	v_mul_f64 v[72:73], v[32:33], s[16:17]
	v_add_f64 v[6:7], v[52:53], v[6:7]
	v_fma_f64 v[52:53], v[28:29], s[34:35], v[60:61]
	v_fma_f64 v[56:57], v[28:29], s[34:35], -v[60:61]
	v_mul_f64 v[60:61], v[32:33], s[46:47]
	v_add_f64 v[14:15], v[70:71], v[14:15]
	v_add_f64 v[62:63], v[108:109], v[62:63]
	;; [unrolled: 1-line block ×3, first 2 shown]
	v_fma_f64 v[68:69], v[28:29], s[6:7], v[72:73]
	v_fma_f64 v[70:71], v[28:29], s[6:7], -v[72:73]
	v_mul_f64 v[72:73], v[32:33], s[38:39]
	v_add_f64 v[30:31], v[52:53], v[30:31]
	v_mul_f64 v[32:33], v[32:33], s[28:29]
	v_add_f64 v[52:53], v[56:57], v[54:55]
	v_fma_f64 v[54:55], v[28:29], s[20:21], v[60:61]
	v_fma_f64 v[56:57], v[28:29], s[20:21], -v[60:61]
	v_add_f64 v[18:19], v[68:69], v[18:19]
	v_add_f64 v[50:51], v[70:71], v[50:51]
	v_fma_f64 v[60:61], v[28:29], s[22:23], v[72:73]
	v_fma_f64 v[68:69], v[28:29], s[22:23], -v[72:73]
	v_fma_f64 v[70:71], v[28:29], s[0:1], v[32:33]
	v_fma_f64 v[28:29], v[28:29], s[0:1], -v[32:33]
	v_add_f64 v[32:33], v[54:55], v[42:43]
	v_mul_f64 v[54:55], v[16:17], s[46:47]
	v_add_f64 v[40:41], v[129:130], v[40:41]
	v_add_f64 v[62:63], v[102:103], v[62:63]
	;; [unrolled: 1-line block ×3, first 2 shown]
	s_mov_b32 s5, 0x3feca52d
	v_add_f64 v[34:35], v[100:101], v[34:35]
	v_add_f64 v[6:7], v[28:29], v[6:7]
	v_mul_f64 v[28:29], v[16:17], s[4:5]
	v_fma_f64 v[58:59], v[20:21], s[20:21], v[54:55]
	v_add_f64 v[40:41], v[40:41], v[46:47]
	v_fma_f64 v[46:47], v[20:21], s[20:21], -v[54:55]
	v_mul_f64 v[54:55], v[16:17], s[24:25]
	v_add_f64 v[62:63], v[96:97], v[62:63]
	s_mov_b32 s25, 0x3fe9895b
	s_mov_b32 s24, s18
	v_add_f64 v[34:35], v[60:61], v[34:35]
	v_add_f64 v[14:15], v[58:59], v[14:15]
	v_mul_f64 v[58:59], v[16:17], s[16:17]
	v_add_f64 v[38:39], v[46:47], v[38:39]
	v_fma_f64 v[46:47], v[20:21], s[22:23], v[54:55]
	v_fma_f64 v[54:55], v[20:21], s[22:23], -v[54:55]
	v_add_f64 v[56:57], v[70:71], v[62:63]
	v_mul_f64 v[60:61], v[16:17], s[24:25]
	v_fma_f64 v[62:63], v[20:21], s[2:3], v[28:29]
	v_fma_f64 v[28:29], v[20:21], s[2:3], -v[28:29]
	v_mul_f64 v[16:17], v[16:17], s[30:31]
	v_add_f64 v[22:23], v[68:69], v[22:23]
	v_add_f64 v[18:19], v[46:47], v[18:19]
	;; [unrolled: 1-line block ×3, first 2 shown]
	v_fma_f64 v[50:51], v[20:21], s[6:7], v[58:59]
	v_mul_f64 v[54:55], v[12:13], s[30:31]
	v_fma_f64 v[68:69], v[20:21], s[10:11], v[60:61]
	v_fma_f64 v[60:61], v[20:21], s[10:11], -v[60:61]
	v_add_f64 v[28:29], v[28:29], v[52:53]
	v_fma_f64 v[52:53], v[20:21], s[6:7], -v[58:59]
	v_fma_f64 v[58:59], v[20:21], s[26:27], v[16:17]
	v_fma_f64 v[16:17], v[20:21], s[26:27], -v[16:17]
	v_add_f64 v[20:21], v[44:45], v[24:25]
	v_add_f64 v[24:25], v[50:51], v[34:35]
	v_mul_f64 v[34:35], v[12:13], s[42:43]
	v_fma_f64 v[50:51], v[4:5], s[26:27], v[54:55]
	v_mul_f64 v[44:45], v[12:13], s[46:47]
	v_add_f64 v[30:31], v[62:63], v[30:31]
	v_add_f64 v[22:23], v[52:53], v[22:23]
	;; [unrolled: 1-line block ×5, first 2 shown]
	v_fma_f64 v[20:21], v[4:5], s[26:27], -v[54:55]
	v_fma_f64 v[40:41], v[4:5], s[6:7], v[34:35]
	v_add_f64 v[14:15], v[50:51], v[14:15]
	v_mul_f64 v[50:51], v[12:13], s[36:37]
	v_mul_f64 v[56:57], v[12:13], s[18:19]
	v_fma_f64 v[34:35], v[4:5], s[6:7], -v[34:35]
	v_mul_f64 v[12:13], v[12:13], s[4:5]
	v_fma_f64 v[54:55], v[4:5], s[20:21], v[44:45]
	v_add_f64 v[32:33], v[68:69], v[32:33]
	v_add_f64 v[20:21], v[20:21], v[38:39]
	v_add_f64 v[30:31], v[40:41], v[30:31]
	v_fma_f64 v[38:39], v[4:5], s[0:1], v[50:51]
	v_fma_f64 v[40:41], v[4:5], s[10:11], v[56:57]
	v_add_f64 v[28:29], v[34:35], v[28:29]
	v_fma_f64 v[34:35], v[4:5], s[20:21], -v[44:45]
	v_fma_f64 v[44:45], v[4:5], s[2:3], v[12:13]
	v_add_f64 v[8:9], v[26:27], v[8:9]
	v_fma_f64 v[12:13], v[4:5], s[2:3], -v[12:13]
	v_add_f64 v[42:43], v[60:61], v[42:43]
	v_fma_f64 v[26:27], v[4:5], s[0:1], -v[50:51]
	v_fma_f64 v[4:5], v[4:5], s[10:11], -v[56:57]
	v_add_f64 v[18:19], v[54:55], v[18:19]
	v_add_f64 v[32:33], v[38:39], v[32:33]
	;; [unrolled: 1-line block ×9, first 2 shown]
	v_lshl_add_u32 v12, v90, 7, v91
	ds_write2_b64 v12, v[10:11], v[14:15] offset1:1
	ds_write2_b64 v12, v[30:31], v[18:19] offset0:2 offset1:3
	ds_write2_b64 v12, v[32:33], v[24:25] offset0:4 offset1:5
	;; [unrolled: 1-line block ×7, first 2 shown]
	ds_write_b64 v12, v[20:21] offset:128
.LBB0_15:
	s_or_b64 exec, exec, s[14:15]
	s_movk_i32 s0, 0xf1
	v_mul_lo_u16_sdwa v4, v90, s0 dst_sel:DWORD dst_unused:UNUSED_PAD src0_sel:BYTE_0 src1_sel:DWORD
	v_lshrrev_b16_e32 v68, 12, v4
	v_mul_lo_u16_e32 v4, 17, v68
	v_sub_u16_e32 v69, v90, v4
	v_mov_b32_e32 v4, 7
	v_mul_u32_u24_sdwa v4, v69, v4 dst_sel:DWORD dst_unused:UNUSED_PAD src0_sel:BYTE_0 src1_sel:DWORD
	v_lshlrev_b32_e32 v24, 4, v4
	s_waitcnt lgkmcnt(0)
	s_barrier
	global_load_dwordx4 v[4:7], v24, s[8:9]
	global_load_dwordx4 v[12:15], v24, s[8:9] offset:16
	global_load_dwordx4 v[16:19], v24, s[8:9] offset:32
	;; [unrolled: 1-line block ×6, first 2 shown]
	ds_read2_b64 v[24:27], v91 offset1:187
	ds_read2_b64 v[32:35], v48 offset0:54 offset1:241
	ds_read2_b64 v[28:31], v49 offset0:44 offset1:231
	;; [unrolled: 1-line block ×3, first 2 shown]
	s_mov_b32 s0, 0x667f3bcd
	s_mov_b32 s1, 0x3fe6a09e
	;; [unrolled: 1-line block ×4, first 2 shown]
	s_movk_i32 s4, 0x88
	s_waitcnt vmcnt(0) lgkmcnt(0)
	s_barrier
	v_mul_f64 v[50:51], v[26:27], v[6:7]
	v_mul_f64 v[52:53], v[32:33], v[14:15]
	;; [unrolled: 1-line block ×13, first 2 shown]
	v_fma_f64 v[50:51], v[80:81], v[4:5], -v[50:51]
	v_fma_f64 v[52:53], v[86:87], v[12:13], -v[52:53]
	v_fma_f64 v[32:33], v[32:33], v[12:13], v[14:15]
	v_fma_f64 v[12:13], v[88:89], v[16:17], -v[54:55]
	v_fma_f64 v[14:15], v[34:35], v[16:17], v[18:19]
	v_fma_f64 v[16:17], v[74:75], v[8:9], -v[56:57]
	v_fma_f64 v[18:19], v[82:83], v[38:39], -v[60:61]
	v_fma_f64 v[34:35], v[76:77], v[20:21], -v[58:59]
	v_fma_f64 v[54:55], v[84:85], v[42:43], -v[62:63]
	v_fma_f64 v[38:39], v[46:47], v[38:39], v[40:41]
	v_fma_f64 v[40:41], v[48:49], v[42:43], v[44:45]
	v_fma_f64 v[4:5], v[26:27], v[4:5], v[6:7]
	v_fma_f64 v[6:7], v[30:31], v[20:21], v[22:23]
	v_add_f64 v[16:17], v[78:79], -v[16:17]
	v_add_f64 v[26:27], v[52:53], -v[18:19]
	;; [unrolled: 1-line block ×7, first 2 shown]
	v_fma_f64 v[42:43], v[78:79], 2.0, -v[16:17]
	v_fma_f64 v[34:35], v[52:53], 2.0, -v[26:27]
	;; [unrolled: 1-line block ×4, first 2 shown]
	v_add_f64 v[46:47], v[16:17], -v[30:31]
	v_add_f64 v[48:49], v[18:19], -v[22:23]
	v_fma_f64 v[38:39], v[4:5], 2.0, -v[6:7]
	v_fma_f64 v[4:5], v[14:15], 2.0, -v[22:23]
	v_add_f64 v[51:52], v[6:7], v[20:21]
	v_add_f64 v[14:15], v[42:43], -v[34:35]
	v_add_f64 v[34:35], v[44:45], -v[12:13]
	v_fma_f64 v[53:54], v[16:17], 2.0, -v[46:47]
	v_fma_f64 v[55:56], v[18:19], 2.0, -v[48:49]
	v_mov_b32_e32 v16, 3
	v_add_f64 v[40:41], v[38:39], -v[4:5]
	v_fma_f64 v[57:58], v[6:7], 2.0, -v[51:52]
	v_fma_f64 v[4:5], v[48:49], s[0:1], v[46:47]
	v_fma_f64 v[6:7], v[42:43], 2.0, -v[14:15]
	v_fma_f64 v[12:13], v[44:45], 2.0, -v[34:35]
	v_fma_f64 v[18:19], v[55:56], s[2:3], v[53:54]
	v_lshlrev_b32_sdwa v43, v16, v69 dst_sel:DWORD dst_unused:UNUSED_PAD src0_sel:DWORD src1_sel:BYTE_0
	v_mul_u32_u24_e32 v42, 0x440, v68
	v_add_f64 v[20:21], v[14:15], -v[40:41]
	v_add3_u32 v50, 0, v42, v43
	v_fma_f64 v[22:23], v[51:52], s[2:3], v[4:5]
	v_mul_f64 v[44:45], v[48:49], s[0:1]
	v_add_f64 v[16:17], v[6:7], -v[12:13]
	v_fma_f64 v[18:19], v[57:58], s[2:3], v[18:19]
	v_mul_f64 v[48:49], v[51:52], s[0:1]
	v_mul_f64 v[42:43], v[55:56], s[0:1]
	v_fma_f64 v[12:13], v[14:15], 2.0, -v[20:21]
	v_fma_f64 v[14:15], v[46:47], 2.0, -v[22:23]
	v_mul_f64 v[46:47], v[57:58], s[0:1]
	v_fma_f64 v[4:5], v[6:7], 2.0, -v[16:17]
	v_fma_f64 v[6:7], v[53:54], 2.0, -v[18:19]
	v_cmp_gt_u32_e64 s[0:1], s4, v90
	ds_write2_b64 v50, v[20:21], v[22:23] offset0:102 offset1:119
	ds_write2_b64 v50, v[12:13], v[14:15] offset0:34 offset1:51
	;; [unrolled: 1-line block ×3, first 2 shown]
	ds_write2_b64 v50, v[4:5], v[6:7] offset1:17
	s_waitcnt lgkmcnt(0)
	s_barrier
	s_and_saveexec_b64 s[2:3], s[0:1]
	s_cbranch_execz .LBB0_17
; %bb.16:
	v_add_u32_e32 v0, 0x800, v91
	ds_read2_b64 v[12:15], v0 offset0:16 offset1:152
	v_add_u32_e32 v0, 0x1000, v91
	ds_read2_b64 v[16:19], v0 offset0:32 offset1:168
	;; [unrolled: 2-line block ×3, first 2 shown]
	v_add_u32_e32 v0, 0x2000, v91
	ds_read2_b64 v[4:7], v91 offset1:136
	ds_read2_b64 v[0:3], v0 offset0:64 offset1:200
	ds_read_b64 v[94:95], v91 offset:10880
.LBB0_17:
	s_or_b64 exec, exec, s[2:3]
	v_mul_f64 v[10:11], v[74:75], v[10:11]
	s_waitcnt lgkmcnt(0)
	s_barrier
	v_fma_f64 v[8:9], v[28:29], v[8:9], v[10:11]
	v_fma_f64 v[10:11], v[32:33], 2.0, -v[30:31]
	v_add_f64 v[8:9], v[24:25], -v[8:9]
	v_fma_f64 v[24:25], v[24:25], 2.0, -v[8:9]
	v_add_f64 v[26:27], v[8:9], v[26:27]
	v_add_f64 v[10:11], v[24:25], -v[10:11]
	v_fma_f64 v[51:52], v[8:9], 2.0, -v[26:27]
	v_fma_f64 v[8:9], v[38:39], 2.0, -v[40:41]
	v_add_f64 v[28:29], v[26:27], v[48:49]
	v_fma_f64 v[38:39], v[24:25], 2.0, -v[10:11]
	v_add_f64 v[24:25], v[51:52], -v[46:47]
	v_add_f64 v[32:33], v[10:11], v[34:35]
	v_add_f64 v[34:35], v[44:45], v[28:29]
	v_add_f64 v[28:29], v[38:39], -v[8:9]
	v_add_f64 v[30:31], v[42:43], v[24:25]
	v_fma_f64 v[24:25], v[10:11], 2.0, -v[32:33]
	v_fma_f64 v[26:27], v[26:27], 2.0, -v[34:35]
	;; [unrolled: 1-line block ×4, first 2 shown]
	ds_write2_b64 v50, v[32:33], v[34:35] offset0:102 offset1:119
	ds_write2_b64 v50, v[24:25], v[26:27] offset0:34 offset1:51
	;; [unrolled: 1-line block ×3, first 2 shown]
	ds_write2_b64 v50, v[8:9], v[10:11] offset1:17
	s_waitcnt lgkmcnt(0)
	s_barrier
	s_and_saveexec_b64 s[2:3], s[0:1]
	s_cbranch_execnz .LBB0_20
; %bb.18:
	s_or_b64 exec, exec, s[2:3]
	s_and_b64 s[0:1], vcc, s[0:1]
	s_and_saveexec_b64 s[2:3], s[0:1]
	s_cbranch_execnz .LBB0_21
.LBB0_19:
	s_endpgm
.LBB0_20:
	v_add_u32_e32 v24, 0x800, v91
	v_add_u32_e32 v28, 0x1000, v91
	;; [unrolled: 1-line block ×4, first 2 shown]
	ds_read2_b64 v[8:11], v91 offset1:136
	ds_read2_b64 v[24:27], v24 offset0:16 offset1:152
	ds_read2_b64 v[28:31], v28 offset0:32 offset1:168
	;; [unrolled: 1-line block ×4, first 2 shown]
	ds_read_b64 v[36:37], v91 offset:10880
	s_or_b64 exec, exec, s[2:3]
	s_and_b64 s[0:1], vcc, s[0:1]
	s_and_saveexec_b64 s[2:3], s[0:1]
	s_cbranch_execz .LBB0_19
.LBB0_21:
	v_mul_u32_u24_e32 v38, 10, v90
	v_lshlrev_b32_e32 v62, 4, v38
	global_load_dwordx4 v[38:41], v62, s[8:9] offset:1968
	global_load_dwordx4 v[42:45], v62, s[8:9] offset:1984
	;; [unrolled: 1-line block ×10, first 2 shown]
	s_mov_b32 s8, 0x9bcd5057
	s_mov_b32 s24, 0xfd768dbf
	;; [unrolled: 1-line block ×30, first 2 shown]
	v_mov_b32_e32 v91, 0
	s_waitcnt vmcnt(9) lgkmcnt(3)
	v_mul_f64 v[62:63], v[30:31], v[38:39]
	s_waitcnt vmcnt(8) lgkmcnt(2)
	v_mul_f64 v[84:85], v[32:33], v[42:43]
	v_mul_f64 v[30:31], v[30:31], v[40:41]
	s_waitcnt vmcnt(7)
	v_mul_f64 v[86:87], v[28:29], v[46:47]
	s_waitcnt vmcnt(6)
	v_mul_f64 v[88:89], v[34:35], v[50:51]
	v_mul_f64 v[96:97], v[28:29], v[48:49]
	s_waitcnt vmcnt(5)
	v_mul_f64 v[98:99], v[26:27], v[54:55]
	s_waitcnt vmcnt(4) lgkmcnt(1)
	v_mul_f64 v[100:101], v[64:65], v[58:59]
	v_mul_f64 v[102:103], v[26:27], v[56:57]
	;; [unrolled: 1-line block ×3, first 2 shown]
	s_waitcnt vmcnt(3)
	v_mul_f64 v[104:105], v[24:25], v[68:69]
	s_waitcnt vmcnt(2)
	v_mul_f64 v[106:107], v[66:67], v[72:73]
	v_mul_f64 v[108:109], v[24:25], v[70:71]
	;; [unrolled: 1-line block ×3, first 2 shown]
	s_waitcnt vmcnt(1)
	v_mul_f64 v[110:111], v[10:11], v[76:77]
	s_waitcnt vmcnt(0) lgkmcnt(0)
	v_mul_f64 v[112:113], v[36:37], v[80:81]
	v_mul_f64 v[114:115], v[10:11], v[78:79]
	;; [unrolled: 1-line block ×3, first 2 shown]
	v_fma_f64 v[28:29], v[18:19], v[40:41], v[62:63]
	v_fma_f64 v[24:25], v[20:21], v[44:45], v[84:85]
	v_fma_f64 v[30:31], v[18:19], v[38:39], -v[30:31]
	v_fma_f64 v[62:63], v[16:17], v[48:49], v[86:87]
	v_fma_f64 v[18:19], v[22:23], v[52:53], v[88:89]
	v_fma_f64 v[84:85], v[16:17], v[46:47], -v[96:97]
	;; [unrolled: 3-line block ×3, first 2 shown]
	v_fma_f64 v[14:15], v[0:1], v[58:59], -v[64:65]
	v_fma_f64 v[64:65], v[12:13], v[70:71], v[104:105]
	v_fma_f64 v[68:69], v[12:13], v[68:69], -v[108:109]
	v_fma_f64 v[12:13], v[2:3], v[72:73], -v[66:67]
	v_fma_f64 v[66:67], v[6:7], v[78:79], v[110:111]
	v_fma_f64 v[0:1], v[94:95], v[82:83], v[112:113]
	v_fma_f64 v[10:11], v[2:3], v[74:75], v[106:107]
	v_fma_f64 v[70:71], v[6:7], v[76:77], -v[114:115]
	v_fma_f64 v[2:3], v[94:95], v[80:81], -v[36:37]
	v_mul_f64 v[32:33], v[32:33], v[44:45]
	v_mul_f64 v[34:35], v[34:35], v[52:53]
	v_add_f64 v[76:77], v[86:87], v[16:17]
	v_add_f64 v[82:83], v[68:69], -v[12:13]
	v_add_f64 v[58:59], v[66:67], v[0:1]
	v_add_f64 v[104:105], v[66:67], -v[0:1]
	;; [unrolled: 2-line block ×3, first 2 shown]
	v_add_f64 v[110:111], v[64:65], -v[10:11]
	v_add_f64 v[112:113], v[70:71], v[2:3]
	v_fma_f64 v[26:27], v[20:21], v[42:43], -v[32:33]
	v_fma_f64 v[20:21], v[22:23], v[50:51], -v[34:35]
	v_mul_f64 v[38:39], v[58:59], s[8:9]
	v_mul_f64 v[40:41], v[104:105], s[26:27]
	v_add_f64 v[106:107], v[86:87], -v[16:17]
	v_add_f64 v[108:109], v[68:69], v[12:13]
	v_mul_f64 v[44:45], v[80:81], s[10:11]
	v_mul_f64 v[50:51], v[110:111], s[30:31]
	v_add_f64 v[72:73], v[28:29], v[24:25]
	v_add_f64 v[74:75], v[62:63], v[18:19]
	v_fma_f64 v[54:55], v[94:95], s[24:25], v[38:39]
	v_fma_f64 v[56:57], v[112:113], s[8:9], v[40:41]
	;; [unrolled: 1-line block ×3, first 2 shown]
	v_add_f64 v[78:79], v[88:89], -v[14:15]
	v_add_f64 v[100:101], v[62:63], -v[18:19]
	v_add_f64 v[102:103], v[88:89], v[14:15]
	v_mul_f64 v[42:43], v[76:77], s[0:1]
	v_mul_f64 v[52:53], v[106:107], s[22:23]
	v_fma_f64 v[116:117], v[82:83], s[18:19], v[44:45]
	v_fma_f64 v[118:119], v[108:109], s[10:11], v[50:51]
	;; [unrolled: 1-line block ×3, first 2 shown]
	v_add_f64 v[54:55], v[8:9], v[54:55]
	v_add_f64 v[56:57], v[4:5], v[56:57]
	;; [unrolled: 1-line block ×3, first 2 shown]
	v_add_f64 v[6:7], v[30:31], -v[26:27]
	v_add_f64 v[32:33], v[84:85], -v[20:21]
	;; [unrolled: 1-line block ×3, first 2 shown]
	v_add_f64 v[98:99], v[84:85], v[20:21]
	v_mul_f64 v[34:35], v[72:73], s[2:3]
	v_mul_f64 v[36:37], v[74:75], s[4:5]
	;; [unrolled: 1-line block ×3, first 2 shown]
	v_fma_f64 v[124:125], v[78:79], s[14:15], v[42:43]
	v_fma_f64 v[126:127], v[102:103], s[0:1], v[52:53]
	;; [unrolled: 1-line block ×3, first 2 shown]
	v_add_f64 v[54:55], v[116:117], v[54:55]
	v_add_f64 v[56:57], v[118:119], v[56:57]
	;; [unrolled: 1-line block ×3, first 2 shown]
	v_fma_f64 v[40:41], v[112:113], s[8:9], -v[40:41]
	v_add_f64 v[22:23], v[30:31], v[26:27]
	v_mul_f64 v[46:47], v[96:97], s[20:21]
	v_mul_f64 v[114:115], v[58:59], s[0:1]
	;; [unrolled: 1-line block ×3, first 2 shown]
	v_fma_f64 v[44:45], v[6:7], s[16:17], v[34:35]
	v_fma_f64 v[116:117], v[32:33], s[6:7], v[36:37]
	;; [unrolled: 1-line block ×4, first 2 shown]
	v_add_f64 v[54:55], v[124:125], v[54:55]
	v_add_f64 v[56:57], v[126:127], v[56:57]
	;; [unrolled: 1-line block ×3, first 2 shown]
	v_fma_f64 v[124:125], v[6:7], s[20:21], v[34:35]
	v_fma_f64 v[34:35], v[108:109], s[10:11], -v[50:51]
	v_add_f64 v[40:41], v[4:5], v[40:41]
	v_mul_f64 v[60:61], v[80:81], s[2:3]
	v_mul_f64 v[120:121], v[110:111], s[16:17]
	v_fma_f64 v[42:43], v[22:23], s[2:3], v[46:47]
	v_add_f64 v[50:51], v[116:117], v[54:55]
	v_add_f64 v[54:55], v[118:119], v[56:57]
	;; [unrolled: 1-line block ×3, first 2 shown]
	v_fma_f64 v[52:53], v[102:103], s[0:1], -v[52:53]
	v_fma_f64 v[56:57], v[94:95], s[14:15], v[114:115]
	v_add_f64 v[116:117], v[34:35], v[40:41]
	v_fma_f64 v[118:119], v[112:113], s[0:1], v[122:123]
	v_fma_f64 v[48:49], v[98:99], s[4:5], -v[48:49]
	v_add_f64 v[36:37], v[44:45], v[50:51]
	v_add_f64 v[34:35], v[42:43], v[54:55]
	;; [unrolled: 1-line block ×3, first 2 shown]
	v_mul_f64 v[38:39], v[76:77], s[10:11]
	v_fma_f64 v[42:43], v[82:83], s[20:21], v[60:61]
	v_add_f64 v[44:45], v[8:9], v[56:57]
	v_add_f64 v[50:51], v[52:53], v[116:117]
	v_mul_f64 v[52:53], v[106:107], s[18:19]
	v_fma_f64 v[54:55], v[94:95], s[22:23], v[114:115]
	v_fma_f64 v[56:57], v[108:109], s[2:3], v[120:121]
	v_add_f64 v[114:115], v[4:5], v[118:119]
	v_mul_f64 v[116:117], v[74:75], s[8:9]
	v_fma_f64 v[118:119], v[78:79], s[30:31], v[38:39]
	v_add_f64 v[42:43], v[42:43], v[44:45]
	v_mul_f64 v[124:125], v[100:101], s[26:27]
	v_fma_f64 v[44:45], v[82:83], s[16:17], v[60:61]
	v_add_f64 v[54:55], v[8:9], v[54:55]
	v_fma_f64 v[60:61], v[102:103], s[10:11], v[52:53]
	v_add_f64 v[56:57], v[56:57], v[114:115]
	v_mul_f64 v[114:115], v[72:73], s[4:5]
	v_fma_f64 v[126:127], v[32:33], s[24:25], v[116:117]
	v_add_f64 v[42:43], v[118:119], v[42:43]
	v_mul_f64 v[118:119], v[96:97], s[28:29]
	v_fma_f64 v[38:39], v[78:79], s[18:19], v[38:39]
	v_add_f64 v[44:45], v[44:45], v[54:55]
	v_fma_f64 v[54:55], v[98:99], s[8:9], v[124:125]
	v_add_f64 v[56:57], v[60:61], v[56:57]
	v_fma_f64 v[46:47], v[22:23], s[2:3], -v[46:47]
	v_add_f64 v[48:49], v[48:49], v[50:51]
	v_fma_f64 v[50:51], v[6:7], s[6:7], v[114:115]
	v_add_f64 v[42:43], v[126:127], v[42:43]
	v_fma_f64 v[60:61], v[32:33], s[26:27], v[116:117]
	v_fma_f64 v[116:117], v[112:113], s[0:1], -v[122:123]
	v_add_f64 v[44:45], v[38:39], v[44:45]
	v_fma_f64 v[122:123], v[22:23], s[4:5], v[118:119]
	v_add_f64 v[54:55], v[54:55], v[56:57]
	v_mul_f64 v[56:57], v[58:59], s[2:3]
	v_add_f64 v[38:39], v[46:47], v[48:49]
	v_fma_f64 v[46:47], v[6:7], s[28:29], v[114:115]
	v_fma_f64 v[48:49], v[108:109], s[2:3], -v[120:121]
	v_add_f64 v[114:115], v[4:5], v[116:117]
	v_add_f64 v[60:61], v[60:61], v[44:45]
	;; [unrolled: 1-line block ×4, first 2 shown]
	v_fma_f64 v[50:51], v[102:103], s[10:11], -v[52:53]
	v_mul_f64 v[52:53], v[104:105], s[20:21]
	v_mul_f64 v[54:55], v[80:81], s[8:9]
	v_fma_f64 v[116:117], v[94:95], s[16:17], v[56:57]
	v_add_f64 v[114:115], v[48:49], v[114:115]
	v_add_f64 v[48:49], v[46:47], v[60:61]
	v_fma_f64 v[46:47], v[98:99], s[8:9], -v[124:125]
	v_mul_f64 v[60:61], v[76:77], s[4:5]
	v_mul_f64 v[120:121], v[110:111], s[24:25]
	v_fma_f64 v[122:123], v[112:113], s[2:3], v[52:53]
	v_fma_f64 v[124:125], v[82:83], s[26:27], v[54:55]
	v_add_f64 v[116:117], v[8:9], v[116:117]
	v_fma_f64 v[56:57], v[94:95], s[20:21], v[56:57]
	v_add_f64 v[50:51], v[50:51], v[114:115]
	v_fma_f64 v[114:115], v[22:23], s[4:5], -v[118:119]
	v_mul_f64 v[118:119], v[74:75], s[10:11]
	v_mul_f64 v[126:127], v[106:107], s[28:29]
	v_fma_f64 v[128:129], v[108:109], s[8:9], v[120:121]
	v_add_f64 v[122:123], v[4:5], v[122:123]
	v_fma_f64 v[130:131], v[78:79], s[6:7], v[60:61]
	v_add_f64 v[116:117], v[124:125], v[116:117]
	;; [unrolled: 2-line block ×3, first 2 shown]
	v_mul_f64 v[124:125], v[100:101], s[18:19]
	v_fma_f64 v[132:133], v[102:103], s[4:5], v[126:127]
	v_fma_f64 v[60:61], v[78:79], s[28:29], v[60:61]
	v_add_f64 v[122:123], v[128:129], v[122:123]
	v_fma_f64 v[128:129], v[32:33], s[30:31], v[118:119]
	v_add_f64 v[116:117], v[130:131], v[116:117]
	v_mul_f64 v[134:135], v[104:105], s[6:7]
	v_add_f64 v[54:55], v[54:55], v[56:57]
	v_fma_f64 v[52:53], v[112:113], s[2:3], -v[52:53]
	v_fma_f64 v[130:131], v[98:99], s[10:11], v[124:125]
	v_mul_f64 v[138:139], v[110:111], s[22:23]
	v_add_f64 v[122:123], v[132:133], v[122:123]
	v_fma_f64 v[120:121], v[108:109], s[8:9], -v[120:121]
	v_add_f64 v[116:117], v[128:129], v[116:117]
	v_mul_f64 v[128:129], v[58:59], s[4:5]
	v_add_f64 v[54:55], v[60:61], v[54:55]
	v_fma_f64 v[60:61], v[112:113], s[4:5], v[134:135]
	v_add_f64 v[52:53], v[4:5], v[52:53]
	v_add_f64 v[46:47], v[46:47], v[50:51]
	;; [unrolled: 1-line block ×3, first 2 shown]
	v_mul_f64 v[130:131], v[80:81], s[0:1]
	v_mul_f64 v[144:145], v[106:107], s[24:25]
	v_fma_f64 v[136:137], v[94:95], s[28:29], v[128:129]
	v_fma_f64 v[146:147], v[108:109], s[0:1], v[138:139]
	v_add_f64 v[60:61], v[4:5], v[60:61]
	v_fma_f64 v[126:127], v[102:103], s[4:5], -v[126:127]
	v_add_f64 v[52:53], v[120:121], v[52:53]
	v_add_f64 v[66:67], v[8:9], v[66:67]
	v_add_f64 v[70:71], v[4:5], v[70:71]
	v_mul_f64 v[50:51], v[72:73], s[0:1]
	v_add_f64 v[46:47], v[114:115], v[46:47]
	v_mul_f64 v[114:115], v[96:97], s[22:23]
	v_fma_f64 v[118:119], v[32:33], s[18:19], v[118:119]
	v_mul_f64 v[140:141], v[76:77], s[8:9]
	v_fma_f64 v[142:143], v[82:83], s[14:15], v[130:131]
	v_add_f64 v[136:137], v[8:9], v[136:137]
	v_fma_f64 v[150:151], v[102:103], s[8:9], v[144:145]
	v_add_f64 v[60:61], v[146:147], v[60:61]
	v_fma_f64 v[124:125], v[98:99], s[10:11], -v[124:125]
	v_add_f64 v[52:53], v[126:127], v[52:53]
	v_add_f64 v[64:65], v[64:65], v[66:67]
	;; [unrolled: 1-line block ×3, first 2 shown]
	v_fma_f64 v[56:57], v[22:23], s[0:1], v[114:115]
	v_mul_f64 v[120:121], v[74:75], s[2:3]
	v_fma_f64 v[148:149], v[78:79], s[26:27], v[140:141]
	v_add_f64 v[136:137], v[142:143], v[136:137]
	v_add_f64 v[60:61], v[150:151], v[60:61]
	v_fma_f64 v[150:151], v[6:7], s[22:23], v[50:51]
	v_add_f64 v[54:55], v[118:119], v[54:55]
	v_fma_f64 v[114:115], v[22:23], s[0:1], -v[114:115]
	v_add_f64 v[118:119], v[124:125], v[52:53]
	v_add_f64 v[64:65], v[86:87], v[64:65]
	;; [unrolled: 1-line block ×3, first 2 shown]
	v_fma_f64 v[132:133], v[6:7], s[14:15], v[50:51]
	v_mul_f64 v[142:143], v[100:101], s[16:17]
	v_mul_f64 v[126:127], v[72:73], s[10:11]
	v_fma_f64 v[146:147], v[32:33], s[20:21], v[120:121]
	v_add_f64 v[136:137], v[148:149], v[136:137]
	v_add_f64 v[50:51], v[56:57], v[122:123]
	;; [unrolled: 1-line block ×4, first 2 shown]
	v_mul_f64 v[114:115], v[58:59], s[10:11]
	v_mul_f64 v[88:89], v[104:105], s[18:19]
	v_add_f64 v[62:63], v[62:63], v[64:65]
	v_add_f64 v[64:65], v[84:85], v[66:67]
	v_fma_f64 v[152:153], v[98:99], s[2:3], v[142:143]
	v_fma_f64 v[124:125], v[6:7], s[18:19], v[126:127]
	v_add_f64 v[136:137], v[146:147], v[136:137]
	v_add_f64 v[52:53], v[132:133], v[116:117]
	v_fma_f64 v[116:117], v[94:95], s[6:7], v[128:129]
	v_fma_f64 v[118:119], v[6:7], s[30:31], v[126:127]
	v_fma_f64 v[122:123], v[112:113], s[4:5], -v[134:135]
	v_mul_f64 v[80:81], v[80:81], s[4:5]
	v_fma_f64 v[126:127], v[94:95], s[30:31], v[114:115]
	v_mul_f64 v[66:67], v[110:111], s[6:7]
	v_fma_f64 v[84:85], v[112:113], s[10:11], v[88:89]
	v_fma_f64 v[94:95], v[94:95], s[18:19], v[114:115]
	v_fma_f64 v[88:89], v[112:113], s[10:11], -v[88:89]
	v_add_f64 v[28:29], v[28:29], v[62:63]
	v_add_f64 v[30:31], v[30:31], v[64:65]
	;; [unrolled: 1-line block ×4, first 2 shown]
	v_fma_f64 v[124:125], v[82:83], s[22:23], v[130:131]
	v_add_f64 v[116:117], v[8:9], v[116:117]
	v_fma_f64 v[130:131], v[108:109], s[0:1], -v[138:139]
	v_add_f64 v[122:123], v[4:5], v[122:123]
	v_mul_f64 v[76:77], v[76:77], s[2:3]
	v_fma_f64 v[132:133], v[82:83], s[28:29], v[80:81]
	v_add_f64 v[126:127], v[8:9], v[126:127]
	v_mul_f64 v[106:107], v[106:107], s[20:21]
	v_fma_f64 v[62:63], v[108:109], s[4:5], v[66:67]
	v_add_f64 v[64:65], v[4:5], v[84:85]
	v_fma_f64 v[80:81], v[82:83], s[6:7], v[80:81]
	v_add_f64 v[8:9], v[8:9], v[94:95]
	v_fma_f64 v[66:67], v[108:109], s[4:5], -v[66:67]
	v_add_f64 v[4:5], v[4:5], v[88:89]
	v_add_f64 v[24:25], v[24:25], v[28:29]
	;; [unrolled: 1-line block ×3, first 2 shown]
	v_fma_f64 v[128:129], v[78:79], s[24:25], v[140:141]
	v_add_f64 v[116:117], v[124:125], v[116:117]
	v_fma_f64 v[124:125], v[102:103], s[8:9], -v[144:145]
	v_add_f64 v[122:123], v[130:131], v[122:123]
	v_mul_f64 v[74:75], v[74:75], s[0:1]
	v_mul_f64 v[100:101], v[100:101], s[22:23]
	v_fma_f64 v[28:29], v[102:103], s[2:3], v[106:107]
	v_add_f64 v[30:31], v[62:63], v[64:65]
	v_fma_f64 v[62:63], v[78:79], s[20:21], v[76:77]
	v_add_f64 v[8:9], v[80:81], v[8:9]
	v_fma_f64 v[64:65], v[102:103], s[2:3], -v[106:107]
	v_add_f64 v[4:5], v[66:67], v[4:5]
	v_add_f64 v[18:19], v[18:19], v[24:25]
	;; [unrolled: 1-line block ×3, first 2 shown]
	v_mul_f64 v[148:149], v[96:97], s[30:31]
	v_fma_f64 v[120:121], v[32:33], s[16:17], v[120:121]
	v_fma_f64 v[130:131], v[78:79], s[16:17], v[76:77]
	v_add_f64 v[126:127], v[132:133], v[126:127]
	v_add_f64 v[116:117], v[128:129], v[116:117]
	v_fma_f64 v[68:69], v[98:99], s[2:3], -v[142:143]
	v_add_f64 v[70:71], v[124:125], v[122:123]
	v_mul_f64 v[96:97], v[96:97], s[26:27]
	v_fma_f64 v[24:25], v[98:99], s[0:1], v[100:101]
	v_add_f64 v[26:27], v[28:29], v[30:31]
	v_fma_f64 v[28:29], v[32:33], s[22:23], v[74:75]
	v_add_f64 v[8:9], v[62:63], v[8:9]
	v_fma_f64 v[30:31], v[98:99], s[0:1], -v[100:101]
	v_add_f64 v[4:5], v[64:65], v[4:5]
	v_add_f64 v[16:17], v[16:17], v[18:19]
	;; [unrolled: 1-line block ×3, first 2 shown]
	v_mul_f64 v[72:73], v[72:73], s[8:9]
	v_fma_f64 v[122:123], v[32:33], s[14:15], v[74:75]
	v_add_f64 v[124:125], v[130:131], v[126:127]
	v_add_f64 v[116:117], v[120:121], v[116:117]
	v_fma_f64 v[86:87], v[22:23], s[10:11], -v[148:149]
	v_add_f64 v[68:69], v[68:69], v[70:71]
	v_fma_f64 v[18:19], v[22:23], s[8:9], v[96:97]
	v_add_f64 v[20:21], v[24:25], v[26:27]
	v_add_f64 v[26:27], v[28:29], v[8:9]
	;; [unrolled: 1-line block ×5, first 2 shown]
	v_fma_f64 v[146:147], v[22:23], s[10:11], v[148:149]
	v_fma_f64 v[24:25], v[6:7], s[26:27], v[72:73]
	v_fma_f64 v[22:23], v[22:23], s[8:9], -v[96:97]
	v_fma_f64 v[70:71], v[6:7], s[24:25], v[72:73]
	v_add_f64 v[104:105], v[122:123], v[124:125]
	v_add_f64 v[6:7], v[118:119], v[116:117]
	;; [unrolled: 1-line block ×8, first 2 shown]
	v_mov_b32_e32 v0, s13
	v_add_co_u32_e32 v2, vcc, s12, v92
	v_addc_co_u32_e32 v3, vcc, v0, v93, vcc
	v_lshlrev_b64 v[0:1], 4, v[90:91]
	s_movk_i32 s0, 0x1000
	v_add_co_u32_e32 v0, vcc, v2, v0
	v_addc_co_u32_e32 v1, vcc, v3, v1, vcc
	v_add_co_u32_e32 v2, vcc, s0, v0
	v_addc_co_u32_e32 v3, vcc, 0, v1, vcc
	s_movk_i32 s0, 0x2000
	v_add_f64 v[10:11], v[70:71], v[104:105]
	global_store_dwordx4 v[0:1], v[16:19], off
	global_store_dwordx4 v[0:1], v[12:15], off offset:2176
	global_store_dwordx4 v[2:3], v[4:7], off offset:256
	;; [unrolled: 1-line block ×3, first 2 shown]
	v_add_co_u32_e32 v2, vcc, s0, v0
	v_add_f64 v[58:59], v[146:147], v[152:153]
	v_addc_co_u32_e32 v3, vcc, 0, v1, vcc
	s_movk_i32 s0, 0x3000
	global_store_dwordx4 v[2:3], v[46:49], off offset:512
	global_store_dwordx4 v[2:3], v[38:41], off offset:2688
	v_add_co_u32_e32 v2, vcc, s0, v0
	v_addc_co_u32_e32 v3, vcc, 0, v1, vcc
	global_store_dwordx4 v[2:3], v[34:37], off offset:768
	global_store_dwordx4 v[2:3], v[42:45], off offset:2944
	v_add_co_u32_e32 v2, vcc, 0x4000, v0
	v_addc_co_u32_e32 v3, vcc, 0, v1, vcc
	v_add_co_u32_e32 v0, vcc, 0x5000, v0
	v_addc_co_u32_e32 v1, vcc, 0, v1, vcc
	global_store_dwordx4 v[2:3], v[50:53], off offset:1024
	global_store_dwordx4 v[2:3], v[58:61], off offset:3200
	;; [unrolled: 1-line block ×3, first 2 shown]
	s_endpgm
	.section	.rodata,"a",@progbits
	.p2align	6, 0x0
	.amdhsa_kernel fft_rtc_fwd_len1496_factors_17_8_11_wgs_187_tpt_187_halfLds_dp_ip_CI_unitstride_sbrr_dirReg
		.amdhsa_group_segment_fixed_size 0
		.amdhsa_private_segment_fixed_size 0
		.amdhsa_kernarg_size 88
		.amdhsa_user_sgpr_count 6
		.amdhsa_user_sgpr_private_segment_buffer 1
		.amdhsa_user_sgpr_dispatch_ptr 0
		.amdhsa_user_sgpr_queue_ptr 0
		.amdhsa_user_sgpr_kernarg_segment_ptr 1
		.amdhsa_user_sgpr_dispatch_id 0
		.amdhsa_user_sgpr_flat_scratch_init 0
		.amdhsa_user_sgpr_private_segment_size 0
		.amdhsa_uses_dynamic_stack 0
		.amdhsa_system_sgpr_private_segment_wavefront_offset 0
		.amdhsa_system_sgpr_workgroup_id_x 1
		.amdhsa_system_sgpr_workgroup_id_y 0
		.amdhsa_system_sgpr_workgroup_id_z 0
		.amdhsa_system_sgpr_workgroup_info 0
		.amdhsa_system_vgpr_workitem_id 0
		.amdhsa_next_free_vgpr 162
		.amdhsa_next_free_sgpr 58
		.amdhsa_reserve_vcc 1
		.amdhsa_reserve_flat_scratch 0
		.amdhsa_float_round_mode_32 0
		.amdhsa_float_round_mode_16_64 0
		.amdhsa_float_denorm_mode_32 3
		.amdhsa_float_denorm_mode_16_64 3
		.amdhsa_dx10_clamp 1
		.amdhsa_ieee_mode 1
		.amdhsa_fp16_overflow 0
		.amdhsa_exception_fp_ieee_invalid_op 0
		.amdhsa_exception_fp_denorm_src 0
		.amdhsa_exception_fp_ieee_div_zero 0
		.amdhsa_exception_fp_ieee_overflow 0
		.amdhsa_exception_fp_ieee_underflow 0
		.amdhsa_exception_fp_ieee_inexact 0
		.amdhsa_exception_int_div_zero 0
	.end_amdhsa_kernel
	.text
.Lfunc_end0:
	.size	fft_rtc_fwd_len1496_factors_17_8_11_wgs_187_tpt_187_halfLds_dp_ip_CI_unitstride_sbrr_dirReg, .Lfunc_end0-fft_rtc_fwd_len1496_factors_17_8_11_wgs_187_tpt_187_halfLds_dp_ip_CI_unitstride_sbrr_dirReg
                                        ; -- End function
	.section	.AMDGPU.csdata,"",@progbits
; Kernel info:
; codeLenInByte = 12540
; NumSgprs: 62
; NumVgprs: 162
; ScratchSize: 0
; MemoryBound: 1
; FloatMode: 240
; IeeeMode: 1
; LDSByteSize: 0 bytes/workgroup (compile time only)
; SGPRBlocks: 7
; VGPRBlocks: 40
; NumSGPRsForWavesPerEU: 62
; NumVGPRsForWavesPerEU: 162
; Occupancy: 1
; WaveLimiterHint : 1
; COMPUTE_PGM_RSRC2:SCRATCH_EN: 0
; COMPUTE_PGM_RSRC2:USER_SGPR: 6
; COMPUTE_PGM_RSRC2:TRAP_HANDLER: 0
; COMPUTE_PGM_RSRC2:TGID_X_EN: 1
; COMPUTE_PGM_RSRC2:TGID_Y_EN: 0
; COMPUTE_PGM_RSRC2:TGID_Z_EN: 0
; COMPUTE_PGM_RSRC2:TIDIG_COMP_CNT: 0
	.type	__hip_cuid_d22c1ab32e209842,@object ; @__hip_cuid_d22c1ab32e209842
	.section	.bss,"aw",@nobits
	.globl	__hip_cuid_d22c1ab32e209842
__hip_cuid_d22c1ab32e209842:
	.byte	0                               ; 0x0
	.size	__hip_cuid_d22c1ab32e209842, 1

	.ident	"AMD clang version 19.0.0git (https://github.com/RadeonOpenCompute/llvm-project roc-6.4.0 25133 c7fe45cf4b819c5991fe208aaa96edf142730f1d)"
	.section	".note.GNU-stack","",@progbits
	.addrsig
	.addrsig_sym __hip_cuid_d22c1ab32e209842
	.amdgpu_metadata
---
amdhsa.kernels:
  - .args:
      - .actual_access:  read_only
        .address_space:  global
        .offset:         0
        .size:           8
        .value_kind:     global_buffer
      - .offset:         8
        .size:           8
        .value_kind:     by_value
      - .actual_access:  read_only
        .address_space:  global
        .offset:         16
        .size:           8
        .value_kind:     global_buffer
      - .actual_access:  read_only
        .address_space:  global
        .offset:         24
        .size:           8
        .value_kind:     global_buffer
      - .offset:         32
        .size:           8
        .value_kind:     by_value
      - .actual_access:  read_only
        .address_space:  global
        .offset:         40
        .size:           8
        .value_kind:     global_buffer
      - .actual_access:  read_only
        .address_space:  global
        .offset:         48
        .size:           8
        .value_kind:     global_buffer
      - .offset:         56
        .size:           4
        .value_kind:     by_value
      - .actual_access:  read_only
        .address_space:  global
        .offset:         64
        .size:           8
        .value_kind:     global_buffer
      - .actual_access:  read_only
        .address_space:  global
        .offset:         72
        .size:           8
        .value_kind:     global_buffer
      - .address_space:  global
        .offset:         80
        .size:           8
        .value_kind:     global_buffer
    .group_segment_fixed_size: 0
    .kernarg_segment_align: 8
    .kernarg_segment_size: 88
    .language:       OpenCL C
    .language_version:
      - 2
      - 0
    .max_flat_workgroup_size: 187
    .name:           fft_rtc_fwd_len1496_factors_17_8_11_wgs_187_tpt_187_halfLds_dp_ip_CI_unitstride_sbrr_dirReg
    .private_segment_fixed_size: 0
    .sgpr_count:     62
    .sgpr_spill_count: 0
    .symbol:         fft_rtc_fwd_len1496_factors_17_8_11_wgs_187_tpt_187_halfLds_dp_ip_CI_unitstride_sbrr_dirReg.kd
    .uniform_work_group_size: 1
    .uses_dynamic_stack: false
    .vgpr_count:     162
    .vgpr_spill_count: 0
    .wavefront_size: 64
amdhsa.target:   amdgcn-amd-amdhsa--gfx906
amdhsa.version:
  - 1
  - 2
...

	.end_amdgpu_metadata
